;; amdgpu-corpus repo=ROCm/rocFFT kind=compiled arch=gfx1030 opt=O3
	.text
	.amdgcn_target "amdgcn-amd-amdhsa--gfx1030"
	.amdhsa_code_object_version 6
	.protected	fft_rtc_fwd_len1428_factors_17_2_7_6_wgs_119_tpt_119_halfLds_dp_op_CI_CI_unitstride_sbrr_C2R_dirReg ; -- Begin function fft_rtc_fwd_len1428_factors_17_2_7_6_wgs_119_tpt_119_halfLds_dp_op_CI_CI_unitstride_sbrr_C2R_dirReg
	.globl	fft_rtc_fwd_len1428_factors_17_2_7_6_wgs_119_tpt_119_halfLds_dp_op_CI_CI_unitstride_sbrr_C2R_dirReg
	.p2align	8
	.type	fft_rtc_fwd_len1428_factors_17_2_7_6_wgs_119_tpt_119_halfLds_dp_op_CI_CI_unitstride_sbrr_C2R_dirReg,@function
fft_rtc_fwd_len1428_factors_17_2_7_6_wgs_119_tpt_119_halfLds_dp_op_CI_CI_unitstride_sbrr_C2R_dirReg: ; @fft_rtc_fwd_len1428_factors_17_2_7_6_wgs_119_tpt_119_halfLds_dp_op_CI_CI_unitstride_sbrr_C2R_dirReg
; %bb.0:
	s_clause 0x2
	s_load_dwordx4 s[12:15], s[4:5], 0x0
	s_load_dwordx4 s[8:11], s[4:5], 0x58
	;; [unrolled: 1-line block ×3, first 2 shown]
	v_mul_u32_u24_e32 v1, 0x227, v0
	v_mov_b32_e32 v3, 0
	s_mov_b64 s[58:59], s[2:3]
	s_mov_b64 s[56:57], s[0:1]
	v_add_nc_u32_sdwa v5, s6, v1 dst_sel:DWORD dst_unused:UNUSED_PAD src0_sel:DWORD src1_sel:WORD_1
	v_mov_b32_e32 v1, 0
	v_mov_b32_e32 v6, v3
	;; [unrolled: 1-line block ×3, first 2 shown]
	s_add_u32 s56, s56, s7
	s_addc_u32 s57, s57, 0
	s_waitcnt lgkmcnt(0)
	v_cmp_lt_u64_e64 s0, s[14:15], 2
	s_and_b32 vcc_lo, exec_lo, s0
	s_cbranch_vccnz .LBB0_8
; %bb.1:
	s_load_dwordx2 s[0:1], s[4:5], 0x10
	v_mov_b32_e32 v1, 0
	v_mov_b32_e32 v2, 0
	s_add_u32 s2, s18, 8
	s_addc_u32 s3, s19, 0
	s_add_u32 s6, s16, 8
	s_addc_u32 s7, s17, 0
	v_mov_b32_e32 v85, v2
	v_mov_b32_e32 v84, v1
	s_mov_b64 s[22:23], 1
	s_waitcnt lgkmcnt(0)
	s_add_u32 s20, s0, 8
	s_addc_u32 s21, s1, 0
.LBB0_2:                                ; =>This Inner Loop Header: Depth=1
	s_load_dwordx2 s[24:25], s[20:21], 0x0
                                        ; implicit-def: $vgpr88_vgpr89
	s_mov_b32 s0, exec_lo
	s_waitcnt lgkmcnt(0)
	v_or_b32_e32 v4, s25, v6
	v_cmpx_ne_u64_e32 0, v[3:4]
	s_xor_b32 s1, exec_lo, s0
	s_cbranch_execz .LBB0_4
; %bb.3:                                ;   in Loop: Header=BB0_2 Depth=1
	v_cvt_f32_u32_e32 v4, s24
	v_cvt_f32_u32_e32 v7, s25
	s_sub_u32 s0, 0, s24
	s_subb_u32 s26, 0, s25
	v_fmac_f32_e32 v4, 0x4f800000, v7
	v_rcp_f32_e32 v4, v4
	v_mul_f32_e32 v4, 0x5f7ffffc, v4
	v_mul_f32_e32 v7, 0x2f800000, v4
	v_trunc_f32_e32 v7, v7
	v_fmac_f32_e32 v4, 0xcf800000, v7
	v_cvt_u32_f32_e32 v7, v7
	v_cvt_u32_f32_e32 v4, v4
	v_mul_lo_u32 v8, s0, v7
	v_mul_hi_u32 v9, s0, v4
	v_mul_lo_u32 v10, s26, v4
	v_add_nc_u32_e32 v8, v9, v8
	v_mul_lo_u32 v9, s0, v4
	v_add_nc_u32_e32 v8, v8, v10
	v_mul_hi_u32 v10, v4, v9
	v_mul_lo_u32 v11, v4, v8
	v_mul_hi_u32 v12, v4, v8
	v_mul_hi_u32 v13, v7, v9
	v_mul_lo_u32 v9, v7, v9
	v_mul_hi_u32 v14, v7, v8
	v_mul_lo_u32 v8, v7, v8
	v_add_co_u32 v10, vcc_lo, v10, v11
	v_add_co_ci_u32_e32 v11, vcc_lo, 0, v12, vcc_lo
	v_add_co_u32 v9, vcc_lo, v10, v9
	v_add_co_ci_u32_e32 v9, vcc_lo, v11, v13, vcc_lo
	v_add_co_ci_u32_e32 v10, vcc_lo, 0, v14, vcc_lo
	v_add_co_u32 v8, vcc_lo, v9, v8
	v_add_co_ci_u32_e32 v9, vcc_lo, 0, v10, vcc_lo
	v_add_co_u32 v4, vcc_lo, v4, v8
	v_add_co_ci_u32_e32 v7, vcc_lo, v7, v9, vcc_lo
	v_mul_hi_u32 v8, s0, v4
	v_mul_lo_u32 v10, s26, v4
	v_mul_lo_u32 v9, s0, v7
	v_add_nc_u32_e32 v8, v8, v9
	v_mul_lo_u32 v9, s0, v4
	v_add_nc_u32_e32 v8, v8, v10
	v_mul_hi_u32 v10, v4, v9
	v_mul_lo_u32 v11, v4, v8
	v_mul_hi_u32 v12, v4, v8
	v_mul_hi_u32 v13, v7, v9
	v_mul_lo_u32 v9, v7, v9
	v_mul_hi_u32 v14, v7, v8
	v_mul_lo_u32 v8, v7, v8
	v_add_co_u32 v10, vcc_lo, v10, v11
	v_add_co_ci_u32_e32 v11, vcc_lo, 0, v12, vcc_lo
	v_add_co_u32 v9, vcc_lo, v10, v9
	v_add_co_ci_u32_e32 v9, vcc_lo, v11, v13, vcc_lo
	v_add_co_ci_u32_e32 v10, vcc_lo, 0, v14, vcc_lo
	v_add_co_u32 v8, vcc_lo, v9, v8
	v_add_co_ci_u32_e32 v9, vcc_lo, 0, v10, vcc_lo
	v_add_co_u32 v4, vcc_lo, v4, v8
	v_add_co_ci_u32_e32 v11, vcc_lo, v7, v9, vcc_lo
	v_mul_hi_u32 v13, v5, v4
	v_mad_u64_u32 v[9:10], null, v6, v4, 0
	v_mad_u64_u32 v[7:8], null, v5, v11, 0
	;; [unrolled: 1-line block ×3, first 2 shown]
	v_add_co_u32 v4, vcc_lo, v13, v7
	v_add_co_ci_u32_e32 v7, vcc_lo, 0, v8, vcc_lo
	v_add_co_u32 v4, vcc_lo, v4, v9
	v_add_co_ci_u32_e32 v4, vcc_lo, v7, v10, vcc_lo
	v_add_co_ci_u32_e32 v7, vcc_lo, 0, v12, vcc_lo
	v_add_co_u32 v4, vcc_lo, v4, v11
	v_add_co_ci_u32_e32 v9, vcc_lo, 0, v7, vcc_lo
	v_mul_lo_u32 v10, s25, v4
	v_mad_u64_u32 v[7:8], null, s24, v4, 0
	v_mul_lo_u32 v11, s24, v9
	v_sub_co_u32 v7, vcc_lo, v5, v7
	v_add3_u32 v8, v8, v11, v10
	v_sub_nc_u32_e32 v10, v6, v8
	v_subrev_co_ci_u32_e64 v10, s0, s25, v10, vcc_lo
	v_add_co_u32 v11, s0, v4, 2
	v_add_co_ci_u32_e64 v12, s0, 0, v9, s0
	v_sub_co_u32 v13, s0, v7, s24
	v_sub_co_ci_u32_e32 v8, vcc_lo, v6, v8, vcc_lo
	v_subrev_co_ci_u32_e64 v10, s0, 0, v10, s0
	v_cmp_le_u32_e32 vcc_lo, s24, v13
	v_cmp_eq_u32_e64 s0, s25, v8
	v_cndmask_b32_e64 v13, 0, -1, vcc_lo
	v_cmp_le_u32_e32 vcc_lo, s25, v10
	v_cndmask_b32_e64 v14, 0, -1, vcc_lo
	v_cmp_le_u32_e32 vcc_lo, s24, v7
	;; [unrolled: 2-line block ×3, first 2 shown]
	v_cndmask_b32_e64 v15, 0, -1, vcc_lo
	v_cmp_eq_u32_e32 vcc_lo, s25, v10
	v_cndmask_b32_e64 v7, v15, v7, s0
	v_cndmask_b32_e32 v10, v14, v13, vcc_lo
	v_add_co_u32 v13, vcc_lo, v4, 1
	v_add_co_ci_u32_e32 v14, vcc_lo, 0, v9, vcc_lo
	v_cmp_ne_u32_e32 vcc_lo, 0, v10
	v_cndmask_b32_e32 v8, v14, v12, vcc_lo
	v_cndmask_b32_e32 v10, v13, v11, vcc_lo
	v_cmp_ne_u32_e32 vcc_lo, 0, v7
	v_cndmask_b32_e32 v89, v9, v8, vcc_lo
	v_cndmask_b32_e32 v88, v4, v10, vcc_lo
.LBB0_4:                                ;   in Loop: Header=BB0_2 Depth=1
	s_andn2_saveexec_b32 s0, s1
	s_cbranch_execz .LBB0_6
; %bb.5:                                ;   in Loop: Header=BB0_2 Depth=1
	v_cvt_f32_u32_e32 v4, s24
	s_sub_i32 s1, 0, s24
	v_mov_b32_e32 v89, v3
	v_rcp_iflag_f32_e32 v4, v4
	v_mul_f32_e32 v4, 0x4f7ffffe, v4
	v_cvt_u32_f32_e32 v4, v4
	v_mul_lo_u32 v7, s1, v4
	v_mul_hi_u32 v7, v4, v7
	v_add_nc_u32_e32 v4, v4, v7
	v_mul_hi_u32 v4, v5, v4
	v_mul_lo_u32 v7, v4, s24
	v_add_nc_u32_e32 v8, 1, v4
	v_sub_nc_u32_e32 v7, v5, v7
	v_subrev_nc_u32_e32 v9, s24, v7
	v_cmp_le_u32_e32 vcc_lo, s24, v7
	v_cndmask_b32_e32 v7, v7, v9, vcc_lo
	v_cndmask_b32_e32 v4, v4, v8, vcc_lo
	v_cmp_le_u32_e32 vcc_lo, s24, v7
	v_add_nc_u32_e32 v8, 1, v4
	v_cndmask_b32_e32 v88, v4, v8, vcc_lo
.LBB0_6:                                ;   in Loop: Header=BB0_2 Depth=1
	s_or_b32 exec_lo, exec_lo, s0
	v_mul_lo_u32 v4, v89, s24
	v_mul_lo_u32 v9, v88, s25
	s_load_dwordx2 s[0:1], s[6:7], 0x0
	v_mad_u64_u32 v[7:8], null, v88, s24, 0
	s_load_dwordx2 s[24:25], s[2:3], 0x0
	s_add_u32 s22, s22, 1
	s_addc_u32 s23, s23, 0
	s_add_u32 s2, s2, 8
	s_addc_u32 s3, s3, 0
	s_add_u32 s6, s6, 8
	v_add3_u32 v4, v8, v9, v4
	v_sub_co_u32 v5, vcc_lo, v5, v7
	s_addc_u32 s7, s7, 0
	s_add_u32 s20, s20, 8
	v_sub_co_ci_u32_e32 v4, vcc_lo, v6, v4, vcc_lo
	s_addc_u32 s21, s21, 0
	s_waitcnt lgkmcnt(0)
	v_mul_lo_u32 v6, s0, v4
	v_mul_lo_u32 v7, s1, v5
	v_mad_u64_u32 v[1:2], null, s0, v5, v[1:2]
	v_mul_lo_u32 v4, s24, v4
	v_mul_lo_u32 v8, s25, v5
	v_mad_u64_u32 v[84:85], null, s24, v5, v[84:85]
	v_cmp_ge_u64_e64 s0, s[22:23], s[14:15]
	v_add3_u32 v2, v7, v2, v6
	v_add3_u32 v85, v8, v85, v4
	s_and_b32 vcc_lo, exec_lo, s0
	s_cbranch_vccnz .LBB0_9
; %bb.7:                                ;   in Loop: Header=BB0_2 Depth=1
	v_mov_b32_e32 v5, v88
	v_mov_b32_e32 v6, v89
	s_branch .LBB0_2
.LBB0_8:
	v_mov_b32_e32 v85, v2
	v_mov_b32_e32 v89, v6
	;; [unrolled: 1-line block ×4, first 2 shown]
.LBB0_9:
	s_load_dwordx2 s[0:1], s[4:5], 0x28
	v_mul_hi_u32 v3, 0x226b903, v0
	s_lshl_b64 s[4:5], s[14:15], 3
                                        ; implicit-def: $vgpr86
	s_add_u32 s2, s18, s4
	s_addc_u32 s3, s19, s5
	s_waitcnt lgkmcnt(0)
	v_cmp_gt_u64_e32 vcc_lo, s[0:1], v[88:89]
	v_cmp_le_u64_e64 s0, s[0:1], v[88:89]
	s_and_saveexec_b32 s1, s0
	s_xor_b32 s0, exec_lo, s1
; %bb.10:
	v_mul_u32_u24_e32 v1, 0x77, v3
                                        ; implicit-def: $vgpr3
	v_sub_nc_u32_e32 v86, v0, v1
                                        ; implicit-def: $vgpr0
                                        ; implicit-def: $vgpr1_vgpr2
; %bb.11:
	s_or_saveexec_b32 s1, s0
	s_load_dwordx2 s[2:3], s[2:3], 0x0
	s_xor_b32 exec_lo, exec_lo, s1
	s_cbranch_execz .LBB0_15
; %bb.12:
	s_add_u32 s4, s16, s4
	s_addc_u32 s5, s17, s5
	v_lshlrev_b64 v[1:2], 4, v[1:2]
	s_load_dwordx2 s[4:5], s[4:5], 0x0
	s_waitcnt lgkmcnt(0)
	v_mul_lo_u32 v6, s5, v88
	v_mul_lo_u32 v7, s4, v89
	v_mad_u64_u32 v[4:5], null, s4, v88, 0
	s_mov_b32 s4, exec_lo
	v_add3_u32 v5, v5, v7, v6
	v_mul_u32_u24_e32 v6, 0x77, v3
	v_lshlrev_b64 v[3:4], 4, v[4:5]
	v_sub_nc_u32_e32 v86, v0, v6
	v_lshlrev_b32_e32 v50, 4, v86
	v_add_co_u32 v0, s0, s8, v3
	v_add_co_ci_u32_e64 v3, s0, s9, v4, s0
	v_add_co_u32 v0, s0, v0, v1
	v_add_co_ci_u32_e64 v1, s0, v3, v2, s0
	;; [unrolled: 2-line block ×3, first 2 shown]
	s_clause 0x1
	global_load_dwordx4 v[2:5], v[26:27], off
	global_load_dwordx4 v[6:9], v[26:27], off offset:1904
	v_add_co_u32 v10, s0, 0x800, v26
	v_add_co_ci_u32_e64 v11, s0, 0, v27, s0
	v_add_co_u32 v14, s0, 0x1000, v26
	v_add_co_ci_u32_e64 v15, s0, 0, v27, s0
	;; [unrolled: 2-line block ×10, first 2 shown]
	s_clause 0x9
	global_load_dwordx4 v[10:13], v[10:11], off offset:1760
	global_load_dwordx4 v[14:17], v[14:15], off offset:1616
	;; [unrolled: 1-line block ×10, first 2 shown]
	v_add_nc_u32_e32 v50, 0, v50
	s_waitcnt vmcnt(11)
	ds_write_b128 v50, v[2:5]
	s_waitcnt vmcnt(10)
	ds_write_b128 v50, v[6:9] offset:1904
	s_waitcnt vmcnt(9)
	ds_write_b128 v50, v[10:13] offset:3808
	;; [unrolled: 2-line block ×11, first 2 shown]
	v_cmpx_eq_u32_e32 0x76, v86
	s_cbranch_execz .LBB0_14
; %bb.13:
	v_add_co_u32 v0, s0, 0x5800, v0
	v_add_co_ci_u32_e64 v1, s0, 0, v1, s0
	v_mov_b32_e32 v4, 0
	v_mov_b32_e32 v86, 0x76
	global_load_dwordx4 v[0:3], v[0:1], off offset:320
	s_waitcnt vmcnt(0)
	ds_write_b128 v4, v[0:3] offset:22848
.LBB0_14:
	s_or_b32 exec_lo, exec_lo, s4
.LBB0_15:
	s_or_b32 exec_lo, exec_lo, s1
	v_lshlrev_b32_e32 v0, 4, v86
	s_waitcnt lgkmcnt(0)
	s_barrier
	buffer_gl0_inv
	s_add_u32 s1, s12, 0x5830
	v_add_nc_u32_e32 v218, 0, v0
	v_sub_nc_u32_e32 v10, 0, v0
	s_addc_u32 s4, s13, 0
	s_mov_b32 s5, exec_lo
                                        ; implicit-def: $vgpr4_vgpr5
	ds_read_b64 v[6:7], v218
	ds_read_b64 v[8:9], v10 offset:22848
	s_waitcnt lgkmcnt(0)
	v_add_f64 v[0:1], v[6:7], v[8:9]
	v_add_f64 v[2:3], v[6:7], -v[8:9]
	v_cmpx_ne_u32_e32 0, v86
	s_xor_b32 s5, exec_lo, s5
	s_cbranch_execz .LBB0_17
; %bb.16:
	v_mov_b32_e32 v87, 0
	v_add_f64 v[13:14], v[6:7], v[8:9]
	v_add_f64 v[15:16], v[6:7], -v[8:9]
	v_lshlrev_b64 v[0:1], 4, v[86:87]
	v_add_co_u32 v0, s0, s1, v0
	v_add_co_ci_u32_e64 v1, s0, s4, v1, s0
	global_load_dwordx4 v[2:5], v[0:1], off
	ds_read_b64 v[0:1], v10 offset:22856
	ds_read_b64 v[11:12], v218 offset:8
	s_waitcnt lgkmcnt(0)
	v_add_f64 v[6:7], v[0:1], v[11:12]
	v_add_f64 v[0:1], v[11:12], -v[0:1]
	s_waitcnt vmcnt(0)
	v_fma_f64 v[8:9], v[15:16], v[4:5], v[13:14]
	v_fma_f64 v[11:12], -v[15:16], v[4:5], v[13:14]
	v_fma_f64 v[13:14], v[6:7], v[4:5], -v[0:1]
	v_fma_f64 v[4:5], v[6:7], v[4:5], v[0:1]
	v_fma_f64 v[0:1], -v[6:7], v[2:3], v[8:9]
	v_fma_f64 v[6:7], v[6:7], v[2:3], v[11:12]
	v_fma_f64 v[8:9], v[15:16], v[2:3], v[13:14]
	;; [unrolled: 1-line block ×3, first 2 shown]
	v_mov_b32_e32 v4, v86
	v_mov_b32_e32 v5, v87
	ds_write_b128 v10, v[6:9] offset:22848
.LBB0_17:
	s_andn2_saveexec_b32 s0, s5
	s_cbranch_execz .LBB0_19
; %bb.18:
	v_mov_b32_e32 v8, 0
	ds_read_b128 v[4:7], v8 offset:11424
	s_waitcnt lgkmcnt(0)
	v_add_f64 v[11:12], v[4:5], v[4:5]
	v_mul_f64 v[13:14], v[6:7], -2.0
	v_mov_b32_e32 v4, 0
	v_mov_b32_e32 v5, 0
	ds_write_b128 v8, v[11:14] offset:11424
.LBB0_19:
	s_or_b32 exec_lo, exec_lo, s0
	v_lshlrev_b64 v[4:5], 4, v[4:5]
	ds_write_b128 v218, v[0:3]
	s_mov_b32 s14, 0xeb564b22
	s_mov_b32 s6, 0x923c349f
	;; [unrolled: 1-line block ×4, first 2 shown]
	v_add_co_u32 v27, s0, s1, v4
	v_add_co_ci_u32_e64 v28, s0, s4, v5, s0
	s_mov_b32 s8, 0x3259b75e
	v_add_co_u32 v8, s0, 0x800, v27
	global_load_dwordx4 v[4:7], v[27:28], off offset:1904
	v_add_co_ci_u32_e64 v9, s0, 0, v28, s0
	s_mov_b32 s4, 0xacd6c6b4
	s_mov_b32 s24, 0xc61f0d01
	;; [unrolled: 1-line block ×3, first 2 shown]
	global_load_dwordx4 v[11:14], v[8:9], off offset:1760
	v_add_co_u32 v8, s0, 0x1000, v27
	v_add_co_ci_u32_e64 v9, s0, 0, v28, s0
	s_mov_b32 s9, 0x3fb79ee6
	s_mov_b32 s5, 0xbfc7851a
	;; [unrolled: 1-line block ×3, first 2 shown]
	global_load_dwordx4 v[15:18], v[8:9], off offset:1616
	v_add_co_u32 v8, s0, 0x1800, v27
	v_add_co_ci_u32_e64 v9, s0, 0, v28, s0
	ds_read_b128 v[0:3], v218 offset:1904
	ds_read_b128 v[19:22], v10 offset:20944
	s_mov_b32 s19, 0x3fe0d888
	s_mov_b32 s16, 0x7faef3
	global_load_dwordx4 v[23:26], v[8:9], off offset:1472
	s_mov_b32 s22, 0x910ea3b9
	s_mov_b32 s40, 0x2a9d6da3
	;; [unrolled: 1-line block ×16, first 2 shown]
	s_waitcnt lgkmcnt(0)
	v_add_f64 v[8:9], v[0:1], v[19:20]
	v_add_f64 v[29:30], v[21:22], v[2:3]
	v_add_f64 v[19:20], v[0:1], -v[19:20]
	v_add_f64 v[0:1], v[2:3], -v[21:22]
	s_mov_b32 s35, 0x3fdc86fa
	s_mov_b32 s37, 0xbfe0d888
	;; [unrolled: 1-line block ×13, first 2 shown]
	s_mov_b32 s33, exec_lo
	s_waitcnt vmcnt(3)
	v_fma_f64 v[2:3], v[19:20], v[6:7], v[8:9]
	v_fma_f64 v[21:22], v[29:30], v[6:7], v[0:1]
	v_fma_f64 v[8:9], -v[19:20], v[6:7], v[8:9]
	v_fma_f64 v[31:32], v[29:30], v[6:7], -v[0:1]
	v_fma_f64 v[0:1], -v[29:30], v[4:5], v[2:3]
	v_fma_f64 v[2:3], v[19:20], v[4:5], v[21:22]
	v_fma_f64 v[6:7], v[29:30], v[4:5], v[8:9]
	;; [unrolled: 1-line block ×3, first 2 shown]
	v_add_co_u32 v19, s0, 0x2000, v27
	v_add_co_ci_u32_e64 v20, s0, 0, v28, s0
	ds_write_b128 v218, v[0:3] offset:1904
	ds_write_b128 v10, v[6:9] offset:20944
	ds_read_b128 v[0:3], v218 offset:3808
	ds_read_b128 v[4:7], v10 offset:19040
	global_load_dwordx4 v[19:22], v[19:20], off offset:1328
	s_waitcnt lgkmcnt(0)
	v_add_f64 v[8:9], v[0:1], v[4:5]
	v_add_f64 v[27:28], v[6:7], v[2:3]
	v_add_f64 v[29:30], v[0:1], -v[4:5]
	v_add_f64 v[0:1], v[2:3], -v[6:7]
	s_waitcnt vmcnt(3)
	v_fma_f64 v[2:3], v[29:30], v[13:14], v[8:9]
	v_fma_f64 v[4:5], v[27:28], v[13:14], v[0:1]
	v_fma_f64 v[6:7], -v[29:30], v[13:14], v[8:9]
	v_fma_f64 v[8:9], v[27:28], v[13:14], -v[0:1]
	v_fma_f64 v[0:1], -v[27:28], v[11:12], v[2:3]
	v_fma_f64 v[2:3], v[29:30], v[11:12], v[4:5]
	v_fma_f64 v[4:5], v[27:28], v[11:12], v[6:7]
	v_fma_f64 v[6:7], v[29:30], v[11:12], v[8:9]
	ds_write_b128 v218, v[0:3] offset:3808
	ds_write_b128 v10, v[4:7] offset:19040
	ds_read_b128 v[0:3], v218 offset:5712
	ds_read_b128 v[4:7], v10 offset:17136
	s_waitcnt lgkmcnt(0)
	v_add_f64 v[8:9], v[0:1], v[4:5]
	v_add_f64 v[11:12], v[6:7], v[2:3]
	v_add_f64 v[13:14], v[0:1], -v[4:5]
	v_add_f64 v[0:1], v[2:3], -v[6:7]
	s_waitcnt vmcnt(2)
	v_fma_f64 v[2:3], v[13:14], v[17:18], v[8:9]
	v_fma_f64 v[4:5], v[11:12], v[17:18], v[0:1]
	v_fma_f64 v[6:7], -v[13:14], v[17:18], v[8:9]
	v_fma_f64 v[8:9], v[11:12], v[17:18], -v[0:1]
	v_fma_f64 v[0:1], -v[11:12], v[15:16], v[2:3]
	v_fma_f64 v[2:3], v[13:14], v[15:16], v[4:5]
	v_fma_f64 v[4:5], v[11:12], v[15:16], v[6:7]
	v_fma_f64 v[6:7], v[13:14], v[15:16], v[8:9]
	ds_write_b128 v218, v[0:3] offset:5712
	ds_write_b128 v10, v[4:7] offset:17136
	ds_read_b128 v[0:3], v218 offset:7616
	ds_read_b128 v[4:7], v10 offset:15232
	;; [unrolled: 18-line block ×3, first 2 shown]
	s_waitcnt lgkmcnt(0)
	v_add_f64 v[8:9], v[0:1], v[4:5]
	v_add_f64 v[11:12], v[6:7], v[2:3]
	v_add_f64 v[13:14], v[0:1], -v[4:5]
	v_add_f64 v[0:1], v[2:3], -v[6:7]
	s_waitcnt vmcnt(0)
	v_fma_f64 v[2:3], v[13:14], v[21:22], v[8:9]
	v_fma_f64 v[4:5], v[11:12], v[21:22], v[0:1]
	v_fma_f64 v[6:7], -v[13:14], v[21:22], v[8:9]
	v_fma_f64 v[8:9], v[11:12], v[21:22], -v[0:1]
	v_fma_f64 v[0:1], -v[11:12], v[19:20], v[2:3]
	v_fma_f64 v[2:3], v[13:14], v[19:20], v[4:5]
	v_fma_f64 v[4:5], v[11:12], v[19:20], v[6:7]
	;; [unrolled: 1-line block ×3, first 2 shown]
	ds_write_b128 v218, v[0:3] offset:9520
	ds_write_b128 v10, v[4:7] offset:13328
	s_waitcnt lgkmcnt(0)
	s_barrier
	buffer_gl0_inv
	s_barrier
	buffer_gl0_inv
	ds_read_b128 v[8:11], v218 offset:21504
	ds_read_b128 v[24:27], v218 offset:1344
	;; [unrolled: 1-line block ×3, first 2 shown]
	ds_read_b128 v[20:23], v218
	ds_read_b128 v[36:39], v218 offset:2688
	ds_read_b128 v[32:35], v218 offset:4032
	;; [unrolled: 1-line block ×9, first 2 shown]
	s_waitcnt lgkmcnt(11)
	v_add_f64 v[98:99], v[26:27], -v[10:11]
	v_add_f64 v[92:93], v[24:25], -v[8:9]
	v_add_f64 v[94:95], v[24:25], v[8:9]
	s_waitcnt lgkmcnt(8)
	v_add_f64 v[96:97], v[38:39], -v[14:15]
	v_add_f64 v[90:91], v[36:37], -v[12:13]
	v_add_f64 v[100:101], v[26:27], v[10:11]
	v_add_f64 v[118:119], v[36:37], v[12:13]
	s_waitcnt lgkmcnt(6)
	v_add_f64 v[130:131], v[34:35], -v[18:19]
	v_add_f64 v[106:107], v[32:33], -v[16:17]
	v_add_f64 v[144:145], v[38:39], v[14:15]
	v_add_f64 v[116:117], v[32:33], v[16:17]
	;; [unrolled: 1-line block ×3, first 2 shown]
	s_waitcnt lgkmcnt(4)
	v_add_f64 v[132:133], v[74:75], -v[30:31]
	v_add_f64 v[104:105], v[72:73], -v[28:29]
	v_add_f64 v[120:121], v[72:73], v[28:29]
	v_add_f64 v[146:147], v[74:75], v[30:31]
	s_waitcnt lgkmcnt(2)
	v_add_f64 v[134:135], v[58:59], -v[42:43]
	v_add_f64 v[108:109], v[56:57], -v[40:41]
	v_add_f64 v[122:123], v[56:57], v[40:41]
	v_add_f64 v[148:149], v[58:59], v[42:43]
	s_waitcnt lgkmcnt(0)
	v_add_f64 v[136:137], v[66:67], -v[46:47]
	v_add_f64 v[110:111], v[64:65], -v[44:45]
	v_mul_f64 v[160:161], v[98:99], s[14:15]
	v_mul_f64 v[204:205], v[92:93], s[14:15]
	v_mul_f64 v[210:211], v[98:99], s[6:7]
	v_mul_f64 v[208:209], v[92:93], s[6:7]
	v_mul_f64 v[162:163], v[96:97], s[4:5]
	v_mul_f64 v[174:175], v[90:91], s[4:5]
	v_mul_f64 v[184:185], v[96:97], s[18:19]
	v_mul_f64 v[216:217], v[90:91], s[18:19]
	v_mul_f64 v[158:159], v[130:131], s[26:27]
	v_mul_f64 v[168:169], v[106:107], s[26:27]
	v_mul_f64 v[192:193], v[130:131], s[40:41]
	v_mul_f64 v[214:215], v[106:107], s[40:41]
	v_mul_f64 v[156:157], v[132:133], s[20:21]
	v_mul_f64 v[170:171], v[104:105], s[20:21]
	v_mul_f64 v[190:191], v[132:133], s[30:31]
	v_mul_f64 v[212:213], v[104:105], s[30:31]
	v_mul_f64 v[102:103], v[134:135], s[30:31]
	v_mul_f64 v[176:177], v[108:109], s[30:31]
	v_mul_f64 v[194:195], v[134:135], s[4:5]
	v_mul_f64 v[200:201], v[108:109], s[4:5]
	v_add_f64 v[124:125], v[64:65], v[44:45]
	v_add_f64 v[150:151], v[66:67], v[46:47]
	v_fma_f64 v[0:1], v[94:95], s[8:9], v[160:161]
	v_fma_f64 v[2:3], v[100:101], s[8:9], -v[204:205]
	v_fma_f64 v[4:5], v[94:95], s[24:25], v[210:211]
	v_fma_f64 v[6:7], v[100:101], s[24:25], -v[208:209]
	;; [unrolled: 2-line block ×8, first 2 shown]
	v_mul_f64 v[164:165], v[136:137], s[36:37]
	v_mul_f64 v[182:183], v[110:111], s[36:37]
	;; [unrolled: 1-line block ×4, first 2 shown]
	v_fma_f64 v[128:129], v[122:123], s[16:17], v[194:195]
	v_fma_f64 v[154:155], v[148:149], s[16:17], -v[200:201]
	v_add_f64 v[0:1], v[20:21], v[0:1]
	v_add_f64 v[2:3], v[22:23], v[2:3]
	;; [unrolled: 1-line block ×4, first 2 shown]
	v_fma_f64 v[219:220], v[124:125], s[8:9], v[198:199]
	v_fma_f64 v[221:222], v[150:151], s[8:9], -v[202:203]
	v_add_f64 v[0:1], v[48:49], v[0:1]
	v_add_f64 v[2:3], v[50:51], v[2:3]
	;; [unrolled: 1-line block ×4, first 2 shown]
	ds_read_b128 v[60:63], v218 offset:9408
	ds_read_b128 v[48:51], v218 offset:13440
	v_add_f64 v[0:1], v[68:69], v[0:1]
	v_add_f64 v[2:3], v[70:71], v[2:3]
	;; [unrolled: 1-line block ×4, first 2 shown]
	s_waitcnt lgkmcnt(0)
	v_add_f64 v[138:139], v[62:63], -v[50:51]
	v_add_f64 v[112:113], v[60:61], -v[48:49]
	v_fma_f64 v[76:77], v[122:123], s[34:35], v[102:103]
	v_fma_f64 v[78:79], v[148:149], s[34:35], -v[176:177]
	ds_read_b128 v[68:71], v218 offset:10752
	ds_read_b128 v[52:55], v218 offset:12096
	v_add_f64 v[152:153], v[62:63], v[50:51]
	s_waitcnt lgkmcnt(0)
	s_barrier
	buffer_gl0_inv
	v_add_f64 v[0:1], v[80:81], v[0:1]
	v_add_f64 v[2:3], v[82:83], v[2:3]
	;; [unrolled: 1-line block ×5, first 2 shown]
	v_mul_f64 v[166:167], v[138:139], s[42:43]
	v_add_f64 v[140:141], v[70:71], -v[54:55]
	v_add_f64 v[114:115], v[68:69], -v[52:53]
	v_mul_f64 v[180:181], v[112:113], s[42:43]
	v_mul_f64 v[186:187], v[138:139], s[38:39]
	;; [unrolled: 1-line block ×3, first 2 shown]
	v_fma_f64 v[80:81], v[124:125], s[22:23], v[164:165]
	v_fma_f64 v[82:83], v[150:151], s[22:23], -v[182:183]
	v_add_f64 v[0:1], v[76:77], v[0:1]
	v_add_f64 v[2:3], v[78:79], v[2:3]
	;; [unrolled: 1-line block ×6, first 2 shown]
	v_mul_f64 v[172:173], v[140:141], s[40:41]
	v_mul_f64 v[178:179], v[114:115], s[40:41]
	;; [unrolled: 1-line block ×4, first 2 shown]
	v_fma_f64 v[76:77], v[126:127], s[48:49], v[166:167]
	v_fma_f64 v[78:79], v[152:153], s[48:49], -v[180:181]
	v_fma_f64 v[223:224], v[126:127], s[28:29], v[186:187]
	v_fma_f64 v[225:226], v[152:153], s[28:29], -v[206:207]
	v_add_f64 v[0:1], v[80:81], v[0:1]
	v_add_f64 v[2:3], v[82:83], v[2:3]
	;; [unrolled: 1-line block ×4, first 2 shown]
	v_fma_f64 v[80:81], v[128:129], s[44:45], v[172:173]
	v_fma_f64 v[82:83], v[154:155], s[44:45], -v[178:179]
	v_fma_f64 v[219:220], v[128:129], s[48:49], v[188:189]
	v_fma_f64 v[221:222], v[154:155], s[48:49], -v[196:197]
	v_add_f64 v[0:1], v[76:77], v[0:1]
	v_add_f64 v[2:3], v[78:79], v[2:3]
	;; [unrolled: 1-line block ×8, first 2 shown]
	v_cmpx_gt_u32_e32 0x54, v86
	s_cbranch_execz .LBB0_21
; %bb.20:
	v_mul_f64 v[76:77], v[100:101], s[16:17]
	v_mul_f64 v[78:79], v[98:99], s[4:5]
	s_mov_b32 s1, 0x3fc7851a
	s_mov_b32 s0, s4
	v_mul_f64 v[80:81], v[144:145], s[28:29]
	v_mul_f64 v[82:83], v[96:97], s[20:21]
	;; [unrolled: 1-line block ×6, first 2 shown]
	s_mov_b32 s55, 0xbfe58eea
	s_mov_b32 s54, s40
	;; [unrolled: 1-line block ×4, first 2 shown]
	v_mul_f64 v[245:246], v[98:99], s[50:51]
	v_mul_f64 v[239:240], v[96:97], s[52:53]
	;; [unrolled: 1-line block ×3, first 2 shown]
	buffer_store_dword v102, off, s[56:59], 0 ; 4-byte Folded Spill
	buffer_store_dword v103, off, s[56:59], 0 offset:4 ; 4-byte Folded Spill
	buffer_store_dword v156, off, s[56:59], 0 offset:8 ; 4-byte Folded Spill
	;; [unrolled: 1-line block ×3, first 2 shown]
	v_mul_f64 v[247:248], v[144:145], s[22:23]
	v_mul_f64 v[253:254], v[100:101], s[24:25]
	;; [unrolled: 1-line block ×3, first 2 shown]
	v_fma_f64 v[219:220], v[92:93], s[0:1], v[76:77]
	v_fma_f64 v[221:222], v[94:95], s[16:17], v[78:79]
	v_fma_f64 v[76:77], v[92:93], s[4:5], v[76:77]
	v_fma_f64 v[78:79], v[94:95], s[16:17], -v[78:79]
	v_fma_f64 v[227:228], v[90:91], s[38:39], v[80:81]
	v_fma_f64 v[229:230], v[118:119], s[28:29], v[82:83]
	v_fma_f64 v[80:81], v[90:91], s[20:21], v[80:81]
	v_fma_f64 v[82:83], v[118:119], s[28:29], -v[82:83]
	;; [unrolled: 4-line block ×3, first 2 shown]
	v_mul_f64 v[156:157], v[130:131], s[14:15]
	v_add_f64 v[24:25], v[20:21], v[24:25]
	v_add_f64 v[26:27], v[22:23], v[26:27]
	;; [unrolled: 1-line block ×4, first 2 shown]
	v_mul_f64 v[208:209], v[146:147], s[48:49]
	v_add_f64 v[219:220], v[22:23], v[219:220]
	v_add_f64 v[221:222], v[20:21], v[221:222]
	;; [unrolled: 1-line block ×4, first 2 shown]
	v_mul_f64 v[253:254], v[148:149], s[16:17]
	v_add_f64 v[24:25], v[24:25], v[36:37]
	v_mul_f64 v[36:37], v[98:99], s[30:31]
	v_add_f64 v[26:27], v[26:27], v[38:39]
	;; [unrolled: 2-line block ×3, first 2 shown]
	v_add_f64 v[219:220], v[227:228], v[219:220]
	v_add_f64 v[221:222], v[229:230], v[221:222]
	;; [unrolled: 1-line block ×4, first 2 shown]
	v_mul_f64 v[80:81], v[148:149], s[48:49]
	v_mul_f64 v[82:83], v[134:135], s[50:51]
	v_fma_f64 v[227:228], v[104:105], s[54:55], v[231:232]
	v_fma_f64 v[229:230], v[120:121], s[44:45], v[233:234]
	;; [unrolled: 1-line block ×3, first 2 shown]
	v_fma_f64 v[233:234], v[120:121], s[44:45], -v[233:234]
	v_add_f64 v[200:201], v[200:201], v[253:254]
	v_add_f64 v[24:25], v[24:25], v[32:33]
	v_add_f64 v[26:27], v[26:27], v[34:35]
	v_add_f64 v[38:39], v[170:171], v[38:39]
	v_add_f64 v[216:217], v[216:217], v[247:248]
	v_mul_f64 v[247:248], v[146:147], s[34:35]
	v_add_f64 v[219:220], v[235:236], v[219:220]
	v_add_f64 v[221:222], v[237:238], v[221:222]
	;; [unrolled: 1-line block ×4, first 2 shown]
	v_mul_f64 v[223:224], v[150:151], s[34:35]
	v_mul_f64 v[225:226], v[136:137], s[52:53]
	v_fma_f64 v[235:236], v[108:109], s[42:43], v[80:81]
	v_fma_f64 v[237:238], v[122:123], s[48:49], v[82:83]
	;; [unrolled: 1-line block ×3, first 2 shown]
	v_fma_f64 v[82:83], v[122:123], s[48:49], -v[82:83]
	v_add_f64 v[72:73], v[24:25], v[72:73]
	v_add_f64 v[26:27], v[26:27], v[74:75]
	v_mul_f64 v[74:75], v[146:147], s[24:25]
	v_add_f64 v[247:248], v[212:213], v[247:248]
	v_add_f64 v[219:220], v[227:228], v[219:220]
	;; [unrolled: 1-line block ×5, first 2 shown]
	v_mul_f64 v[227:228], v[152:153], s[24:25]
	v_mul_f64 v[229:230], v[138:139], s[6:7]
	v_fma_f64 v[231:232], v[110:111], s[30:31], v[223:224]
	v_fma_f64 v[233:234], v[124:125], s[34:35], v[225:226]
	;; [unrolled: 1-line block ×3, first 2 shown]
	v_fma_f64 v[225:226], v[124:125], s[34:35], -v[225:226]
	v_add_f64 v[26:27], v[26:27], v[58:59]
	v_add_f64 v[58:59], v[72:73], v[56:57]
	;; [unrolled: 1-line block ×6, first 2 shown]
	v_mul_f64 v[80:81], v[154:155], s[8:9]
	v_mul_f64 v[82:83], v[140:141], s[46:47]
	v_fma_f64 v[235:236], v[112:113], s[26:27], v[227:228]
	v_fma_f64 v[237:238], v[126:127], s[24:25], v[229:230]
	v_fma_f64 v[227:228], v[112:113], s[6:7], v[227:228]
	v_fma_f64 v[229:230], v[126:127], s[24:25], -v[229:230]
	v_add_f64 v[26:27], v[26:27], v[66:67]
	v_add_f64 v[58:59], v[58:59], v[64:65]
	v_add_f64 v[219:220], v[231:232], v[219:220]
	v_add_f64 v[221:222], v[233:234], v[221:222]
	v_mul_f64 v[231:232], v[100:101], s[22:23]
	v_mul_f64 v[233:234], v[98:99], s[36:37]
	v_add_f64 v[76:77], v[223:224], v[76:77]
	v_add_f64 v[78:79], v[225:226], v[78:79]
	v_mul_f64 v[225:226], v[100:101], s[48:49]
	v_mul_f64 v[223:224], v[144:145], s[34:35]
	v_fma_f64 v[241:242], v[114:115], s[14:15], v[80:81]
	v_fma_f64 v[243:244], v[128:129], s[8:9], v[82:83]
	;; [unrolled: 1-line block ×3, first 2 shown]
	v_add_f64 v[26:27], v[26:27], v[62:63]
	v_add_f64 v[58:59], v[58:59], v[60:61]
	v_mul_f64 v[60:61], v[98:99], s[38:39]
	v_mul_f64 v[62:63], v[98:99], s[54:55]
	;; [unrolled: 1-line block ×3, first 2 shown]
	v_add_f64 v[219:220], v[235:236], v[219:220]
	v_add_f64 v[221:222], v[237:238], v[221:222]
	v_fma_f64 v[235:236], v[128:129], s[8:9], -v[82:83]
	v_fma_f64 v[82:83], v[92:93], s[18:19], v[231:232]
	v_fma_f64 v[237:238], v[94:95], s[22:23], v[233:234]
	v_add_f64 v[227:228], v[227:228], v[76:77]
	v_add_f64 v[229:230], v[229:230], v[78:79]
	v_fma_f64 v[231:232], v[92:93], s[36:37], v[231:232]
	v_fma_f64 v[233:234], v[94:95], s[22:23], -v[233:234]
	v_fma_f64 v[251:252], v[92:93], s[42:43], v[225:226]
	v_fma_f64 v[225:226], v[92:93], s[50:51], v[225:226]
	v_add_f64 v[26:27], v[26:27], v[70:71]
	v_add_f64 v[58:59], v[58:59], v[68:69]
	v_fma_f64 v[68:69], v[94:95], s[28:29], -v[60:61]
	v_fma_f64 v[70:71], v[94:95], s[44:45], -v[62:63]
	v_fma_f64 v[62:63], v[94:95], s[44:45], v[62:63]
	v_fma_f64 v[60:61], v[94:95], s[28:29], v[60:61]
	v_add_f64 v[78:79], v[241:242], v[219:220]
	v_add_f64 v[76:77], v[243:244], v[221:222]
	v_fma_f64 v[219:220], v[90:91], s[30:31], v[223:224]
	v_fma_f64 v[221:222], v[118:119], s[34:35], v[239:240]
	v_add_f64 v[241:242], v[22:23], v[82:83]
	v_add_f64 v[237:238], v[20:21], v[237:238]
	;; [unrolled: 1-line block ×4, first 2 shown]
	v_mul_f64 v[227:228], v[96:97], s[26:27]
	v_fma_f64 v[229:230], v[94:95], s[48:49], v[245:246]
	v_fma_f64 v[223:224], v[90:91], s[52:53], v[223:224]
	v_fma_f64 v[235:236], v[94:95], s[48:49], -v[245:246]
	v_add_f64 v[231:232], v[22:23], v[231:232]
	v_fma_f64 v[239:240], v[118:119], s[34:35], -v[239:240]
	v_add_f64 v[233:234], v[20:21], v[233:234]
	v_fma_f64 v[243:244], v[90:91], s[6:7], v[249:250]
	v_add_f64 v[245:246], v[22:23], v[251:252]
	v_fma_f64 v[249:250], v[90:91], s[26:27], v[249:250]
	v_add_f64 v[225:226], v[22:23], v[225:226]
	v_add_f64 v[26:27], v[26:27], v[54:55]
	;; [unrolled: 1-line block ×6, first 2 shown]
	v_mul_f64 v[68:69], v[146:147], s[16:17]
	v_add_f64 v[219:220], v[219:220], v[241:242]
	v_mul_f64 v[241:242], v[142:143], s[28:29]
	v_add_f64 v[221:222], v[221:222], v[237:238]
	v_fma_f64 v[237:238], v[118:119], s[24:25], v[227:228]
	v_add_f64 v[229:230], v[20:21], v[229:230]
	v_fma_f64 v[227:228], v[118:119], s[24:25], -v[227:228]
	v_add_f64 v[235:236], v[20:21], v[235:236]
	v_add_f64 v[223:224], v[223:224], v[231:232]
	v_fma_f64 v[231:232], v[106:107], s[46:47], v[102:103]
	v_add_f64 v[233:234], v[239:240], v[233:234]
	v_fma_f64 v[239:240], v[116:117], s[8:9], v[156:157]
	v_add_f64 v[243:244], v[243:244], v[245:246]
	v_mul_f64 v[245:246], v[132:133], s[42:43]
	v_fma_f64 v[102:103], v[106:107], s[14:15], v[102:103]
	v_add_f64 v[225:226], v[249:250], v[225:226]
	v_mul_f64 v[249:250], v[130:131], s[38:39]
	v_fma_f64 v[156:157], v[116:117], s[8:9], -v[156:157]
	v_add_f64 v[26:27], v[26:27], v[50:51]
	v_add_f64 v[48:49], v[52:53], v[48:49]
	;; [unrolled: 1-line block ×3, first 2 shown]
	v_mul_f64 v[237:238], v[148:149], s[28:29]
	v_add_f64 v[227:228], v[227:228], v[235:236]
	v_fma_f64 v[235:236], v[106:107], s[20:21], v[241:242]
	v_add_f64 v[219:220], v[231:232], v[219:220]
	v_fma_f64 v[231:232], v[104:105], s[50:51], v[208:209]
	;; [unrolled: 2-line block ×3, first 2 shown]
	v_fma_f64 v[239:240], v[120:121], s[48:49], v[245:246]
	v_add_f64 v[102:103], v[102:103], v[223:224]
	v_mul_f64 v[223:224], v[134:135], s[38:39]
	v_fma_f64 v[245:246], v[120:121], s[48:49], -v[245:246]
	v_add_f64 v[156:157], v[156:157], v[233:234]
	v_fma_f64 v[233:234], v[116:117], s[28:29], v[249:250]
	v_fma_f64 v[241:242], v[106:107], s[38:39], v[241:242]
	v_add_f64 v[26:27], v[26:27], v[46:47]
	v_add_f64 v[44:45], v[48:49], v[44:45]
	;; [unrolled: 1-line block ×3, first 2 shown]
	v_mul_f64 v[243:244], v[150:151], s[16:17]
	v_add_f64 v[219:220], v[231:232], v[219:220]
	v_fma_f64 v[231:232], v[108:109], s[20:21], v[237:238]
	v_fma_f64 v[237:238], v[108:109], s[38:39], v[237:238]
	v_add_f64 v[221:222], v[239:240], v[221:222]
	v_add_f64 v[102:103], v[208:209], v[102:103]
	v_fma_f64 v[239:240], v[122:123], s[28:29], v[223:224]
	v_mul_f64 v[208:209], v[136:137], s[4:5]
	v_fma_f64 v[223:224], v[122:123], s[28:29], -v[223:224]
	v_add_f64 v[229:230], v[233:234], v[229:230]
	v_mul_f64 v[233:234], v[152:153], s[44:45]
	v_add_f64 v[156:157], v[245:246], v[156:157]
	v_mul_f64 v[245:246], v[146:147], s[22:23]
	;; [unrolled: 2-line block ×3, first 2 shown]
	v_mul_f64 v[146:147], v[146:147], s[8:9]
	v_add_f64 v[26:27], v[26:27], v[42:43]
	v_add_f64 v[40:41], v[44:45], v[40:41]
	v_add_f64 v[219:220], v[231:232], v[219:220]
	v_fma_f64 v[231:232], v[110:111], s[0:1], v[243:244]
	v_fma_f64 v[243:244], v[110:111], s[4:5], v[243:244]
	v_add_f64 v[102:103], v[237:238], v[102:103]
	v_add_f64 v[221:222], v[239:240], v[221:222]
	v_fma_f64 v[239:240], v[124:125], s[16:17], v[208:209]
	v_mul_f64 v[237:238], v[138:139], s[40:41]
	v_fma_f64 v[208:209], v[124:125], s[16:17], -v[208:209]
	v_add_f64 v[156:157], v[223:224], v[156:157]
	v_fma_f64 v[223:224], v[104:105], s[18:19], v[245:246]
	v_fma_f64 v[245:246], v[104:105], s[36:37], v[245:246]
	;; [unrolled: 1-line block ×4, first 2 shown]
	v_add_f64 v[26:27], v[26:27], v[30:31]
	v_add_f64 v[28:29], v[40:41], v[28:29]
	;; [unrolled: 1-line block ×3, first 2 shown]
	v_fma_f64 v[231:232], v[112:113], s[54:55], v[233:234]
	v_add_f64 v[102:103], v[243:244], v[102:103]
	v_fma_f64 v[233:234], v[112:113], s[40:41], v[233:234]
	v_add_f64 v[221:222], v[239:240], v[221:222]
	v_mul_f64 v[239:240], v[132:133], s[36:37]
	v_fma_f64 v[243:244], v[126:127], s[44:45], v[237:238]
	v_fma_f64 v[237:238], v[126:127], s[44:45], -v[237:238]
	v_add_f64 v[156:157], v[208:209], v[156:157]
	v_add_f64 v[223:224], v[223:224], v[235:236]
	v_mul_f64 v[235:236], v[150:151], s[44:45]
	v_add_f64 v[225:226], v[245:246], v[225:226]
	v_add_f64 v[18:19], v[26:27], v[18:19]
	;; [unrolled: 1-line block ×5, first 2 shown]
	v_mul_f64 v[233:234], v[142:143], s[44:45]
	v_fma_f64 v[231:232], v[120:121], s[22:23], v[239:240]
	v_add_f64 v[208:209], v[243:244], v[221:222]
	v_mul_f64 v[221:222], v[134:135], s[46:47]
	v_fma_f64 v[243:244], v[116:117], s[28:29], -v[249:250]
	v_fma_f64 v[239:240], v[120:121], s[22:23], -v[239:240]
	v_add_f64 v[223:224], v[251:252], v[223:224]
	v_mul_f64 v[249:250], v[152:153], s[16:17]
	v_add_f64 v[225:226], v[241:242], v[225:226]
	v_mul_f64 v[241:242], v[118:119], s[22:23]
	v_add_f64 v[14:15], v[18:19], v[14:15]
	v_add_f64 v[18:19], v[16:17], v[12:13]
	;; [unrolled: 1-line block ×4, first 2 shown]
	v_fma_f64 v[231:232], v[110:111], s[40:41], v[235:236]
	v_fma_f64 v[245:246], v[122:123], s[8:9], v[221:222]
	v_add_f64 v[227:228], v[243:244], v[227:228]
	v_fma_f64 v[235:236], v[110:111], s[54:55], v[235:236]
	v_fma_f64 v[221:222], v[122:123], s[8:9], -v[221:222]
	v_mul_f64 v[243:244], v[94:95], s[24:25]
	v_mul_f64 v[233:234], v[136:137], s[54:55]
	v_add_f64 v[184:185], v[241:242], -v[184:185]
	v_add_f64 v[214:215], v[214:215], v[216:217]
	v_mul_f64 v[216:217], v[94:95], s[8:9]
	v_add_f64 v[223:224], v[231:232], v[223:224]
	v_add_f64 v[229:230], v[245:246], v[229:230]
	v_mul_f64 v[245:246], v[100:101], s[8:9]
	v_add_f64 v[227:228], v[239:240], v[227:228]
	v_fma_f64 v[231:232], v[112:113], s[0:1], v[249:250]
	v_add_f64 v[225:226], v[235:236], v[225:226]
	v_add_f64 v[243:244], v[243:244], -v[210:211]
	v_add_f64 v[210:211], v[237:238], v[156:157]
	v_mul_f64 v[156:157], v[116:117], s[44:45]
	v_fma_f64 v[251:252], v[124:125], s[44:45], v[233:234]
	v_mul_f64 v[239:240], v[138:139], s[4:5]
	v_mul_f64 v[235:236], v[142:143], s[24:25]
	;; [unrolled: 1-line block ×3, first 2 shown]
	v_fma_f64 v[233:234], v[124:125], s[44:45], -v[233:234]
	v_add_f64 v[214:215], v[247:248], v[214:215]
	v_add_f64 v[216:217], v[216:217], -v[160:161]
	v_mul_f64 v[247:248], v[120:121], s[28:29]
	v_mul_f64 v[160:161], v[128:129], s[48:49]
	v_add_f64 v[204:205], v[204:205], v[245:246]
	v_fma_f64 v[245:246], v[112:113], s[4:5], v[249:250]
	v_add_f64 v[221:222], v[221:222], v[227:228]
	v_mul_f64 v[227:228], v[150:151], s[8:9]
	v_mul_f64 v[249:250], v[100:101], s[34:35]
	v_add_f64 v[212:213], v[231:232], v[223:224]
	v_mul_f64 v[223:224], v[144:145], s[16:17]
	v_add_f64 v[156:157], v[156:157], -v[192:193]
	v_mul_f64 v[192:193], v[152:153], s[28:29]
	v_add_f64 v[241:242], v[20:21], v[243:244]
	v_mul_f64 v[231:232], v[118:119], s[16:17]
	v_add_f64 v[229:230], v[251:252], v[229:230]
	v_fma_f64 v[243:244], v[126:127], s[16:17], v[239:240]
	v_add_f64 v[168:169], v[168:169], v[235:236]
	v_mul_f64 v[251:252], v[122:123], s[16:17]
	v_add_f64 v[158:159], v[237:238], -v[158:159]
	v_mul_f64 v[235:236], v[126:127], s[48:49]
	v_mul_f64 v[237:238], v[140:141], s[6:7]
	v_add_f64 v[200:201], v[200:201], v[214:215]
	v_add_f64 v[216:217], v[20:21], v[216:217]
	v_mul_f64 v[214:215], v[124:125], s[22:23]
	v_add_f64 v[64:65], v[160:161], -v[188:189]
	v_add_f64 v[204:205], v[22:23], v[204:205]
	v_add_f64 v[225:226], v[245:246], v[225:226]
	v_mul_f64 v[245:246], v[144:145], s[48:49]
	v_add_f64 v[202:203], v[202:203], v[227:228]
	v_fma_f64 v[227:228], v[92:93], s[52:53], v[249:250]
	v_fma_f64 v[34:35], v[92:93], s[30:31], v[249:250]
	v_add_f64 v[174:175], v[174:175], v[223:224]
	v_mul_f64 v[223:224], v[120:121], s[34:35]
	v_add_f64 v[192:193], v[206:207], v[192:193]
	v_mul_f64 v[206:207], v[150:151], s[22:23]
	v_add_f64 v[184:185], v[184:185], v[241:242]
	v_add_f64 v[162:163], v[231:232], -v[162:163]
	v_mul_f64 v[249:250], v[142:143], s[16:17]
	v_add_f64 v[229:230], v[243:244], v[229:230]
	v_mul_f64 v[243:244], v[148:149], s[34:35]
	v_add_f64 v[221:222], v[233:234], v[221:222]
	v_mul_f64 v[233:234], v[124:125], s[8:9]
	v_add_f64 v[194:195], v[251:252], -v[194:195]
	v_mul_f64 v[241:242], v[122:123], s[34:35]
	v_mul_f64 v[231:232], v[152:153], s[48:49]
	;; [unrolled: 1-line block ×5, first 2 shown]
	v_fma_f64 v[239:240], v[126:127], s[16:17], -v[239:240]
	v_fma_f64 v[32:33], v[90:91], s[42:43], v[245:246]
	v_fma_f64 v[245:246], v[90:91], s[50:51], v[245:246]
	v_add_f64 v[227:228], v[22:23], v[227:228]
	v_add_f64 v[34:35], v[22:23], v[34:35]
	;; [unrolled: 1-line block ×3, first 2 shown]
	v_add_f64 v[190:191], v[223:224], -v[190:191]
	v_fma_f64 v[223:224], v[94:95], s[34:35], v[36:37]
	v_fma_f64 v[36:37], v[94:95], s[34:35], -v[36:37]
	v_add_f64 v[182:183], v[182:183], v[206:207]
	v_mul_f64 v[204:205], v[96:97], s[50:51]
	v_add_f64 v[156:157], v[156:157], v[184:185]
	v_mul_f64 v[184:185], v[154:155], s[24:25]
	v_add_f64 v[162:163], v[162:163], v[216:217]
	v_fma_f64 v[253:254], v[106:107], s[4:5], v[249:250]
	v_add_f64 v[176:177], v[176:177], v[243:244]
	v_add_f64 v[200:201], v[202:203], v[200:201]
	v_mul_f64 v[202:203], v[126:127], s[28:29]
	v_add_f64 v[198:199], v[233:234], -v[198:199]
	v_mul_f64 v[94:95], v[130:131], s[30:31]
	v_add_f64 v[180:181], v[180:181], v[231:232]
	v_mul_f64 v[233:234], v[128:129], s[44:45]
	v_mul_f64 v[216:217], v[154:155], s[34:35]
	;; [unrolled: 1-line block ×3, first 2 shown]
	v_add_f64 v[178:179], v[178:179], v[251:252]
	v_add_f64 v[227:228], v[32:33], v[227:228]
	s_clause 0x1
	buffer_load_dword v32, off, s[56:59], 0 offset:8
	buffer_load_dword v33, off, s[56:59], 0 offset:12
	v_add_f64 v[168:169], v[168:169], v[174:175]
	v_add_f64 v[34:35], v[245:246], v[34:35]
	;; [unrolled: 1-line block ×4, first 2 shown]
	s_clause 0x1
	buffer_load_dword v36, off, s[56:59], 0
	buffer_load_dword v37, off, s[56:59], 0 offset:4
	v_fma_f64 v[170:171], v[118:119], s[48:49], v[204:205]
	v_mul_f64 v[223:224], v[130:131], s[0:1]
	v_add_f64 v[156:157], v[190:191], v[156:157]
	v_fma_f64 v[190:191], v[114:115], s[26:27], v[184:185]
	v_fma_f64 v[184:185], v[114:115], s[6:7], v[184:185]
	v_add_f64 v[158:159], v[158:159], v[162:163]
	v_mul_f64 v[162:163], v[148:149], s[44:45]
	v_fma_f64 v[245:246], v[104:105], s[6:7], v[74:75]
	v_fma_f64 v[204:205], v[118:119], s[48:49], -v[204:205]
	v_add_f64 v[72:73], v[202:203], -v[186:187]
	v_fma_f64 v[74:75], v[104:105], s[26:27], v[74:75]
	v_mul_f64 v[186:187], v[150:151], s[28:29]
	v_add_f64 v[192:193], v[192:193], v[200:201]
	v_mul_f64 v[202:203], v[136:137], s[38:39]
	v_add_f64 v[20:21], v[20:21], v[60:61]
	v_add_f64 v[227:228], v[253:254], v[227:228]
	v_mul_f64 v[60:61], v[132:133], s[14:15]
	v_add_f64 v[38:39], v[38:39], v[168:169]
	v_mul_f64 v[168:169], v[132:133], s[26:27]
	v_add_f64 v[172:173], v[233:234], -v[172:173]
	v_add_f64 v[170:171], v[170:171], v[174:175]
	v_fma_f64 v[174:175], v[116:117], s[16:17], v[223:224]
	v_add_f64 v[156:157], v[194:195], v[156:157]
	v_mul_f64 v[194:195], v[154:155], s[48:49]
	v_add_f64 v[24:25], v[190:191], v[219:220]
	v_fma_f64 v[219:220], v[128:129], s[24:25], v[237:238]
	v_fma_f64 v[66:67], v[108:109], s[40:41], v[162:163]
	v_add_f64 v[200:201], v[204:205], v[206:207]
	v_add_f64 v[206:207], v[239:240], v[221:222]
	v_add_f64 v[38:39], v[176:177], v[38:39]
	v_mul_f64 v[176:177], v[134:135], s[40:41]
	v_add_f64 v[170:171], v[174:175], v[170:171]
	v_add_f64 v[156:157], v[198:199], v[156:157]
	;; [unrolled: 1-line block ×4, first 2 shown]
	v_fma_f64 v[198:199], v[116:117], s[16:17], -v[223:224]
	v_fma_f64 v[174:175], v[128:129], s[34:35], v[243:244]
	v_add_f64 v[38:39], v[182:183], v[38:39]
	v_fma_f64 v[204:205], v[122:123], s[44:45], v[176:177]
	v_fma_f64 v[176:177], v[122:123], s[44:45], -v[176:177]
	v_fma_f64 v[182:183], v[128:129], s[34:35], -v[243:244]
	v_add_f64 v[72:73], v[72:73], v[156:157]
	v_mul_f64 v[156:157], v[100:101], s[44:45]
	v_mul_f64 v[100:101], v[100:101], s[28:29]
	v_add_f64 v[56:57], v[194:195], v[192:193]
	v_mul_f64 v[194:195], v[142:143], s[48:49]
	v_fma_f64 v[192:193], v[126:127], s[8:9], v[188:189]
	v_add_f64 v[38:39], v[180:181], v[38:39]
	v_fma_f64 v[180:181], v[110:111], s[38:39], v[186:187]
	v_add_f64 v[12:13], v[178:179], v[38:39]
	v_add_f64 v[38:39], v[18:19], v[8:9]
	v_lshl_add_u32 v8, v86, 8, v218
	s_waitcnt vmcnt(2)
	v_add_f64 v[190:191], v[247:248], -v[32:33]
	v_add_f64 v[32:33], v[184:185], v[102:103]
	v_fma_f64 v[184:185], v[106:107], s[0:1], v[249:250]
	v_fma_f64 v[247:248], v[120:121], s[24:25], v[168:169]
	v_fma_f64 v[168:169], v[120:121], s[24:25], -v[168:169]
	v_fma_f64 v[102:103], v[128:129], s[24:25], -v[237:238]
	v_fma_f64 v[237:238], v[114:115], s[30:31], v[216:217]
	v_fma_f64 v[216:217], v[114:115], s[52:53], v[216:217]
	v_add_f64 v[158:159], v[190:191], v[158:159]
	v_fma_f64 v[190:191], v[108:109], s[54:55], v[162:163]
	v_add_f64 v[34:35], v[184:185], v[34:35]
	s_waitcnt vmcnt(0)
	v_add_f64 v[184:185], v[241:242], -v[36:37]
	v_add_f64 v[170:171], v[247:248], v[170:171]
	v_fma_f64 v[162:163], v[110:111], s[20:21], v[186:187]
	v_mul_f64 v[186:187], v[140:141], s[36:37]
	v_add_f64 v[36:37], v[216:217], v[225:226]
	v_add_f64 v[34:35], v[74:75], v[34:35]
	v_add_f64 v[74:75], v[214:215], -v[164:165]
	v_add_f64 v[164:165], v[190:191], v[196:197]
	v_add_f64 v[158:159], v[184:185], v[158:159]
	;; [unrolled: 1-line block ×3, first 2 shown]
	v_fma_f64 v[190:191], v[124:125], s[28:29], v[202:203]
	v_add_f64 v[170:171], v[204:205], v[170:171]
	v_mul_f64 v[198:199], v[130:131], s[50:51]
	v_fma_f64 v[200:201], v[106:107], s[50:51], v[194:195]
	v_add_f64 v[34:35], v[66:67], v[34:35]
	v_add_f64 v[66:67], v[235:236], -v[166:167]
	v_add_f64 v[162:163], v[162:163], v[164:165]
	v_mul_f64 v[164:165], v[144:145], s[8:9]
	v_fma_f64 v[166:167], v[92:93], s[54:55], v[156:157]
	v_add_f64 v[168:169], v[168:169], v[184:185]
	v_mul_f64 v[184:185], v[96:97], s[14:15]
	v_add_f64 v[170:171], v[190:191], v[170:171]
	v_mul_f64 v[144:145], v[144:145], s[44:45]
	v_fma_f64 v[190:191], v[92:93], s[38:39], v[100:101]
	v_mul_f64 v[96:97], v[96:97], s[54:55]
	v_fma_f64 v[156:157], v[92:93], s[40:41], v[156:157]
	v_fma_f64 v[92:93], v[92:93], s[20:21], v[100:101]
	v_mul_f64 v[100:101], v[142:143], s[34:35]
	v_add_f64 v[74:75], v[74:75], v[158:159]
	v_fma_f64 v[158:159], v[112:113], s[46:47], v[160:161]
	v_fma_f64 v[160:161], v[112:113], s[14:15], v[160:161]
	v_add_f64 v[34:35], v[180:181], v[34:35]
	v_fma_f64 v[180:181], v[126:127], s[8:9], -v[188:189]
	v_fma_f64 v[188:189], v[124:125], s[28:29], -v[202:203]
	v_fma_f64 v[196:197], v[90:91], s[14:15], v[164:165]
	v_add_f64 v[166:167], v[22:23], v[166:167]
	v_add_f64 v[168:169], v[176:177], v[168:169]
	v_fma_f64 v[176:177], v[118:119], s[8:9], -v[184:185]
	v_fma_f64 v[70:71], v[90:91], s[46:47], v[164:165]
	v_fma_f64 v[130:131], v[90:91], s[54:55], v[144:145]
	v_add_f64 v[142:143], v[22:23], v[190:191]
	v_fma_f64 v[190:191], v[118:119], s[44:45], -v[96:97]
	v_add_f64 v[156:157], v[22:23], v[156:157]
	v_fma_f64 v[184:185], v[118:119], s[8:9], v[184:185]
	v_fma_f64 v[90:91], v[90:91], s[40:41], v[144:145]
	v_add_f64 v[22:23], v[22:23], v[92:93]
	v_fma_f64 v[92:93], v[118:119], s[44:45], v[96:97]
	v_fma_f64 v[96:97], v[106:107], s[30:31], v[100:101]
	v_mul_f64 v[164:165], v[132:133], s[4:5]
	v_fma_f64 v[144:145], v[104:105], s[4:5], v[68:69]
	v_fma_f64 v[100:101], v[106:107], s[52:53], v[100:101]
	v_mul_f64 v[132:133], v[134:135], s[18:19]
	v_add_f64 v[66:67], v[66:67], v[74:75]
	v_add_f64 v[34:35], v[160:161], v[34:35]
	v_fma_f64 v[74:75], v[114:115], s[18:19], v[98:99]
	v_add_f64 v[166:167], v[196:197], v[166:167]
	v_fma_f64 v[196:197], v[116:117], s[48:49], -v[198:199]
	v_add_f64 v[52:53], v[176:177], v[58:59]
	v_fma_f64 v[58:59], v[106:107], s[42:43], v[194:195]
	v_fma_f64 v[106:107], v[120:121], s[8:9], -v[60:61]
	v_add_f64 v[118:119], v[130:131], v[142:143]
	v_fma_f64 v[130:131], v[116:117], s[34:35], -v[94:95]
	v_add_f64 v[50:51], v[190:191], v[54:55]
	v_add_f64 v[70:71], v[70:71], v[156:157]
	v_fma_f64 v[142:143], v[116:117], s[48:49], v[198:199]
	v_add_f64 v[62:63], v[184:185], v[62:63]
	v_mul_f64 v[54:55], v[148:149], s[22:23]
	v_add_f64 v[22:23], v[90:91], v[22:23]
	v_fma_f64 v[90:91], v[116:117], s[34:35], v[94:95]
	v_add_f64 v[20:21], v[92:93], v[20:21]
	v_mul_f64 v[148:149], v[148:149], s[24:25]
	v_mul_f64 v[92:93], v[134:135], s[6:7]
	v_fma_f64 v[94:95], v[104:105], s[14:15], v[146:147]
	v_fma_f64 v[60:61], v[120:121], s[8:9], v[60:61]
	v_mul_f64 v[134:135], v[150:151], s[48:49]
	v_add_f64 v[156:157], v[200:201], v[166:167]
	v_fma_f64 v[166:167], v[120:121], s[16:17], -v[164:165]
	v_add_f64 v[48:49], v[196:197], v[52:53]
	v_fma_f64 v[52:53], v[104:105], s[0:1], v[68:69]
	v_fma_f64 v[104:105], v[104:105], s[46:47], v[146:147]
	v_add_f64 v[96:97], v[96:97], v[118:119]
	v_mul_f64 v[68:69], v[136:137], s[26:27]
	v_add_f64 v[46:47], v[130:131], v[50:51]
	v_add_f64 v[58:59], v[58:59], v[70:71]
	v_fma_f64 v[70:71], v[120:121], s[16:17], v[164:165]
	v_add_f64 v[62:63], v[142:143], v[62:63]
	v_mul_f64 v[50:51], v[150:151], s[24:25]
	v_fma_f64 v[116:117], v[108:109], s[18:19], v[54:55]
	v_add_f64 v[22:23], v[100:101], v[22:23]
	v_add_f64 v[20:21], v[90:91], v[20:21]
	v_mul_f64 v[90:91], v[136:137], s[50:51]
	v_fma_f64 v[100:101], v[108:109], s[6:7], v[148:149]
	v_fma_f64 v[130:131], v[122:123], s[22:23], -v[132:133]
	v_add_f64 v[118:119], v[144:145], v[156:157]
	v_add_f64 v[44:45], v[166:167], v[48:49]
	v_fma_f64 v[48:49], v[108:109], s[36:37], v[54:55]
	v_fma_f64 v[108:109], v[108:109], s[26:27], v[148:149]
	v_add_f64 v[94:95], v[94:95], v[96:97]
	v_fma_f64 v[96:97], v[122:123], s[24:25], -v[92:93]
	v_add_f64 v[42:43], v[106:107], v[46:47]
	v_add_f64 v[52:53], v[52:53], v[58:59]
	v_fma_f64 v[58:59], v[122:123], s[22:23], v[132:133]
	v_add_f64 v[62:63], v[70:71], v[62:63]
	v_mul_f64 v[46:47], v[152:153], s[34:35]
	v_fma_f64 v[70:71], v[110:111], s[26:27], v[50:51]
	v_add_f64 v[22:23], v[104:105], v[22:23]
	v_fma_f64 v[92:93], v[122:123], s[24:25], v[92:93]
	v_add_f64 v[20:21], v[60:61], v[20:21]
	v_mul_f64 v[60:61], v[138:139], s[36:37]
	v_fma_f64 v[104:105], v[110:111], s[50:51], v[134:135]
	v_mul_f64 v[54:55], v[138:139], s[52:53]
	v_add_f64 v[106:107], v[116:117], v[118:119]
	v_mul_f64 v[118:119], v[152:153], s[22:23]
	v_fma_f64 v[116:117], v[124:125], s[24:25], -v[68:69]
	v_add_f64 v[40:41], v[130:131], v[44:45]
	v_fma_f64 v[44:45], v[110:111], s[6:7], v[50:51]
	v_add_f64 v[94:95], v[100:101], v[94:95]
	v_fma_f64 v[100:101], v[124:125], s[48:49], -v[90:91]
	v_add_f64 v[30:31], v[96:97], v[42:43]
	v_add_f64 v[48:49], v[48:49], v[52:53]
	v_fma_f64 v[52:53], v[124:125], s[24:25], v[68:69]
	v_add_f64 v[58:59], v[58:59], v[62:63]
	v_fma_f64 v[62:63], v[112:113], s[52:53], v[46:47]
	v_fma_f64 v[90:91], v[124:125], s[48:49], v[90:91]
	v_add_f64 v[22:23], v[108:109], v[22:23]
	v_mul_f64 v[96:97], v[154:155], s[16:17]
	v_add_f64 v[20:21], v[92:93], v[20:21]
	v_mul_f64 v[92:93], v[140:141], s[4:5]
	v_mul_f64 v[42:43], v[154:155], s[28:29]
	;; [unrolled: 1-line block ×3, first 2 shown]
	v_fma_f64 v[46:47], v[112:113], s[30:31], v[46:47]
	v_add_f64 v[68:69], v[70:71], v[106:107]
	v_fma_f64 v[106:107], v[110:111], s[42:43], v[134:135]
	v_fma_f64 v[108:109], v[112:113], s[36:37], v[118:119]
	v_fma_f64 v[70:71], v[126:127], s[34:35], -v[54:55]
	v_add_f64 v[28:29], v[116:117], v[40:41]
	v_add_f64 v[94:95], v[104:105], v[94:95]
	v_fma_f64 v[104:105], v[126:127], s[22:23], -v[60:61]
	v_add_f64 v[26:27], v[100:101], v[30:31]
	v_add_f64 v[30:31], v[188:189], v[168:169]
	;; [unrolled: 1-line block ×3, first 2 shown]
	v_fma_f64 v[48:49], v[126:127], s[34:35], v[54:55]
	v_add_f64 v[52:53], v[52:53], v[58:59]
	v_fma_f64 v[60:61], v[126:127], s[22:23], v[60:61]
	v_fma_f64 v[40:41], v[114:115], s[36:37], v[98:99]
	v_fma_f64 v[100:101], v[128:129], s[22:23], -v[186:187]
	v_add_f64 v[20:21], v[90:91], v[20:21]
	v_fma_f64 v[90:91], v[114:115], s[4:5], v[96:97]
	v_fma_f64 v[54:55], v[114:115], s[20:21], v[42:43]
	v_add_f64 v[98:99], v[158:159], v[162:163]
	v_fma_f64 v[110:111], v[114:115], s[38:39], v[42:43]
	v_fma_f64 v[96:97], v[114:115], s[0:1], v[96:97]
	v_add_f64 v[42:43], v[174:175], v[229:230]
	v_add_f64 v[58:59], v[62:63], v[68:69]
	v_fma_f64 v[62:63], v[112:113], s[18:19], v[118:119]
	v_add_f64 v[22:23], v[106:107], v[22:23]
	v_fma_f64 v[106:107], v[128:129], s[16:17], -v[92:93]
	v_fma_f64 v[68:69], v[128:129], s[28:29], -v[50:51]
	v_add_f64 v[94:95], v[108:109], v[94:95]
	v_add_f64 v[70:71], v[70:71], v[28:29]
	;; [unrolled: 1-line block ×4, first 2 shown]
	v_fma_f64 v[104:105], v[128:129], s[22:23], v[186:187]
	v_add_f64 v[108:109], v[192:193], v[170:171]
	v_add_f64 v[112:113], v[46:47], v[44:45]
	v_fma_f64 v[50:51], v[128:129], s[28:29], v[50:51]
	v_add_f64 v[116:117], v[48:49], v[52:53]
	v_fma_f64 v[92:93], v[128:129], s[16:17], v[92:93]
	v_add_f64 v[114:115], v[60:61], v[20:21]
	v_add_f64 v[16:17], v[40:41], v[34:35]
	;; [unrolled: 1-line block ×21, first 2 shown]
	ds_write_b128 v8, v[38:41]
	ds_write_b128 v8, v[26:29] offset:16
	ds_write_b128 v8, v[18:21] offset:32
	;; [unrolled: 1-line block ×16, first 2 shown]
.LBB0_21:
	s_or_b32 exec_lo, exec_lo, s33
	v_and_b32_e32 v8, 0xff, v86
	v_add_nc_u16 v56, v86, 0x77
	v_add_nc_u32_e32 v9, 0xee, v86
	v_mov_b32_e32 v13, 0xf0f1
	v_add_nc_u32_e32 v10, 0x165, v86
	v_mul_lo_u16 v59, 0xf1, v8
	v_and_b32_e32 v12, 0xff, v56
	v_add_nc_u32_e32 v11, 0x1dc, v86
	v_mul_u32_u24_sdwa v14, v9, v13 dst_sel:DWORD dst_unused:UNUSED_PAD src0_sel:WORD_0 src1_sel:DWORD
	v_add_nc_u32_e32 v8, 0x253, v86
	v_lshrrev_b16 v87, 12, v59
	v_mul_lo_u16 v57, 0xf1, v12
	v_mov_b32_e32 v58, 4
	v_mul_u32_u24_sdwa v15, v10, v13 dst_sel:DWORD dst_unused:UNUSED_PAD src0_sel:WORD_0 src1_sel:DWORD
	v_mul_u32_u24_sdwa v16, v11, v13 dst_sel:DWORD dst_unused:UNUSED_PAD src0_sel:WORD_0 src1_sel:DWORD
	v_mul_lo_u16 v12, v87, 17
	v_lshrrev_b16 v94, 12, v57
	v_lshrrev_b32_e32 v95, 20, v14
	v_mul_u32_u24_sdwa v13, v8, v13 dst_sel:DWORD dst_unused:UNUSED_PAD src0_sel:WORD_0 src1_sel:DWORD
	v_lshrrev_b32_e32 v96, 20, v15
	v_sub_nc_u16 v12, v86, v12
	v_mul_lo_u16 v14, v94, 17
	v_lshrrev_b32_e32 v98, 20, v16
	v_lshrrev_b32_e32 v99, 20, v13
	s_waitcnt lgkmcnt(0)
	s_waitcnt_vscnt null, 0x0
	v_lshlrev_b32_sdwa v97, v58, v12 dst_sel:DWORD dst_unused:UNUSED_PAD src0_sel:DWORD src1_sel:BYTE_0
	v_mul_lo_u16 v12, v95, 17
	v_sub_nc_u16 v13, v56, v14
	v_mul_lo_u16 v14, v96, 17
	v_mul_lo_u16 v15, v99, 17
	s_barrier
	v_sub_nc_u16 v9, v9, v12
	v_mul_lo_u16 v12, v98, 17
	v_lshlrev_b32_sdwa v100, v58, v13 dst_sel:DWORD dst_unused:UNUSED_PAD src0_sel:DWORD src1_sel:BYTE_0
	v_sub_nc_u16 v13, v10, v14
	v_sub_nc_u16 v20, v8, v15
	v_lshlrev_b32_sdwa v101, v58, v9 dst_sel:DWORD dst_unused:UNUSED_PAD src0_sel:DWORD src1_sel:WORD_0
	v_sub_nc_u16 v16, v11, v12
	buffer_gl0_inv
	global_load_dwordx4 v[8:11], v97, s[12:13]
	v_lshlrev_b32_sdwa v102, v58, v13 dst_sel:DWORD dst_unused:UNUSED_PAD src0_sel:DWORD src1_sel:WORD_0
	global_load_dwordx4 v[12:15], v101, s[12:13]
	v_lshlrev_b32_sdwa v103, v58, v16 dst_sel:DWORD dst_unused:UNUSED_PAD src0_sel:DWORD src1_sel:WORD_0
	;; [unrolled: 2-line block ×3, first 2 shown]
	s_clause 0x2
	global_load_dwordx4 v[20:23], v102, s[12:13]
	global_load_dwordx4 v[24:27], v103, s[12:13]
	;; [unrolled: 1-line block ×3, first 2 shown]
	ds_read_b128 v[32:35], v218 offset:11424
	ds_read_b128 v[36:39], v218 offset:15232
	;; [unrolled: 1-line block ×6, first 2 shown]
	ds_read_b128 v[60:63], v218
	ds_read_b128 v[64:67], v218 offset:1904
	ds_read_b128 v[68:71], v218 offset:3808
	;; [unrolled: 1-line block ×3, first 2 shown]
	v_cmp_gt_u32_e64 s0, 0x55, v86
	s_waitcnt vmcnt(5) lgkmcnt(9)
	v_mul_f64 v[76:77], v[34:35], v[10:11]
	v_mul_f64 v[10:11], v[32:33], v[10:11]
	s_waitcnt vmcnt(4) lgkmcnt(8)
	v_mul_f64 v[78:79], v[38:39], v[14:15]
	v_mul_f64 v[14:15], v[36:37], v[14:15]
	;; [unrolled: 3-line block ×6, first 2 shown]
	v_fma_f64 v[32:33], v[32:33], v[8:9], -v[76:77]
	v_fma_f64 v[8:9], v[34:35], v[8:9], v[10:11]
	v_fma_f64 v[10:11], v[36:37], v[12:13], -v[78:79]
	v_fma_f64 v[12:13], v[38:39], v[12:13], v[14:15]
	;; [unrolled: 2-line block ×5, first 2 shown]
	v_fma_f64 v[46:47], v[52:53], v[28:29], -v[92:93]
	ds_read_b128 v[20:23], v218 offset:7616
	ds_read_b128 v[24:27], v218 offset:9520
	v_fma_f64 v[48:49], v[54:55], v[28:29], v[30:31]
	v_mov_b32_e32 v76, 0x220
	v_mul_u32_u24_e32 v78, 0x220, v95
	v_mul_u32_u24_e32 v79, 0x220, v96
	;; [unrolled: 1-line block ×3, first 2 shown]
	s_waitcnt lgkmcnt(0)
	v_mul_u32_u24_sdwa v77, v87, v76 dst_sel:DWORD dst_unused:UNUSED_PAD src0_sel:WORD_0 src1_sel:DWORD
	s_barrier
	buffer_gl0_inv
	v_add_f64 v[28:29], v[60:61], -v[32:33]
	v_add_f64 v[30:31], v[62:63], -v[8:9]
	;; [unrolled: 1-line block ×12, first 2 shown]
	v_fma_f64 v[40:41], v[60:61], 2.0, -v[28:29]
	v_fma_f64 v[42:43], v[62:63], 2.0, -v[30:31]
	;; [unrolled: 1-line block ×8, first 2 shown]
	v_mul_u32_u24_sdwa v61, v94, v76 dst_sel:DWORD dst_unused:UNUSED_PAD src0_sel:WORD_0 src1_sel:DWORD
	v_fma_f64 v[20:21], v[20:21], 2.0, -v[12:13]
	v_fma_f64 v[22:23], v[22:23], 2.0, -v[14:15]
	;; [unrolled: 1-line block ×3, first 2 shown]
	v_mul_u32_u24_e32 v60, 0x220, v99
	v_fma_f64 v[26:27], v[26:27], 2.0, -v[18:19]
	v_add3_u32 v62, 0, v77, v97
	v_add3_u32 v61, 0, v61, v100
	;; [unrolled: 1-line block ×6, first 2 shown]
	ds_write_b128 v62, v[28:31] offset:272
	ds_write_b128 v62, v[40:43]
	ds_write_b128 v61, v[36:39] offset:272
	ds_write_b128 v61, v[48:51]
	ds_write_b128 v63, v[44:47]
	ds_write_b128 v63, v[32:35] offset:272
	ds_write_b128 v64, v[52:55]
	ds_write_b128 v64, v[8:11] offset:272
	;; [unrolled: 2-line block ×4, first 2 shown]
	s_waitcnt lgkmcnt(0)
	s_barrier
	buffer_gl0_inv
	ds_read_b128 v[28:31], v218
	ds_read_b128 v[48:51], v218 offset:3264
	ds_read_b128 v[44:47], v218 offset:6528
	;; [unrolled: 1-line block ×6, first 2 shown]
	s_and_saveexec_b32 s1, s0
	s_cbranch_execz .LBB0_23
; %bb.22:
	ds_read_b128 v[8:11], v218 offset:1904
	ds_read_b128 v[20:23], v218 offset:5168
	;; [unrolled: 1-line block ×7, first 2 shown]
.LBB0_23:
	s_or_b32 exec_lo, exec_lo, s1
	v_lshrrev_b16 v87, 13, v59
	v_mov_b32_e32 v59, 6
	s_mov_b32 s8, 0x37e14327
	s_mov_b32 s16, 0xe976ee23
	;; [unrolled: 1-line block ×3, first 2 shown]
	v_mul_lo_u16 v60, v87, 34
	s_mov_b32 s17, 0xbfe11646
	s_mov_b32 s6, 0x429ad128
	;; [unrolled: 1-line block ×4, first 2 shown]
	v_sub_nc_u16 v102, v86, v60
	s_mov_b32 s5, 0x3fac98ee
	s_mov_b32 s14, 0xaaaaaaaa
	;; [unrolled: 1-line block ×4, first 2 shown]
	v_mul_u32_u24_sdwa v60, v102, v59 dst_sel:DWORD dst_unused:UNUSED_PAD src0_sel:BYTE_0 src1_sel:DWORD
	s_mov_b32 s18, 0x5476071b
	s_mov_b32 s23, 0x3fd5d0dc
	;; [unrolled: 1-line block ×4, first 2 shown]
	v_lshlrev_b32_e32 v80, 4, v60
	s_mov_b32 s25, 0xbfd5d0dc
	s_mov_b32 s20, s18
	;; [unrolled: 1-line block ×4, first 2 shown]
	s_clause 0x5
	global_load_dwordx4 v[60:63], v80, s[12:13] offset:272
	global_load_dwordx4 v[64:67], v80, s[12:13] offset:288
	;; [unrolled: 1-line block ×6, first 2 shown]
	s_mov_b32 s27, 0x3fdc38aa
	s_waitcnt vmcnt(0) lgkmcnt(0)
	s_barrier
	buffer_gl0_inv
	v_mul_f64 v[90:91], v[50:51], v[62:63]
	v_mul_f64 v[62:63], v[48:49], v[62:63]
	;; [unrolled: 1-line block ×12, first 2 shown]
	v_fma_f64 v[48:49], v[48:49], v[60:61], -v[90:91]
	v_fma_f64 v[50:51], v[50:51], v[60:61], v[62:63]
	v_fma_f64 v[44:45], v[44:45], v[64:65], -v[92:93]
	v_fma_f64 v[46:47], v[46:47], v[64:65], v[66:67]
	;; [unrolled: 2-line block ×6, first 2 shown]
	v_add_f64 v[60:61], v[48:49], v[52:53]
	v_add_f64 v[62:63], v[50:51], v[54:55]
	;; [unrolled: 1-line block ×4, first 2 shown]
	v_add_f64 v[40:41], v[44:45], -v[40:41]
	v_add_f64 v[42:43], v[46:47], -v[42:43]
	v_add_f64 v[44:45], v[36:37], v[32:33]
	v_add_f64 v[46:47], v[38:39], v[34:35]
	v_add_f64 v[32:33], v[32:33], -v[36:37]
	v_add_f64 v[34:35], v[34:35], -v[38:39]
	;; [unrolled: 1-line block ×4, first 2 shown]
	v_add_f64 v[48:49], v[64:65], v[60:61]
	v_add_f64 v[50:51], v[66:67], v[62:63]
	v_add_f64 v[52:53], v[60:61], -v[44:45]
	v_add_f64 v[54:55], v[62:63], -v[46:47]
	;; [unrolled: 1-line block ×6, first 2 shown]
	v_add_f64 v[40:41], v[32:33], v[40:41]
	v_add_f64 v[42:43], v[34:35], v[42:43]
	v_add_f64 v[76:77], v[36:37], -v[32:33]
	v_add_f64 v[78:79], v[38:39], -v[34:35]
	v_add_f64 v[48:49], v[44:45], v[48:49]
	v_add_f64 v[50:51], v[46:47], v[50:51]
	v_add_f64 v[44:45], v[44:45], -v[64:65]
	v_add_f64 v[46:47], v[46:47], -v[66:67]
	v_mul_f64 v[52:53], v[52:53], s[8:9]
	v_mul_f64 v[54:55], v[54:55], s[8:9]
	;; [unrolled: 1-line block ×6, first 2 shown]
	v_add_f64 v[36:37], v[40:41], v[36:37]
	v_add_f64 v[38:39], v[42:43], v[38:39]
	;; [unrolled: 1-line block ×4, first 2 shown]
	v_add_f64 v[28:29], v[64:65], -v[60:61]
	v_add_f64 v[30:31], v[66:67], -v[62:63]
	v_mul_f64 v[60:61], v[44:45], s[4:5]
	v_mul_f64 v[62:63], v[46:47], s[4:5]
	v_fma_f64 v[40:41], v[44:45], s[4:5], v[52:53]
	v_fma_f64 v[42:43], v[46:47], s[4:5], v[54:55]
	;; [unrolled: 1-line block ×4, first 2 shown]
	v_fma_f64 v[64:65], v[72:73], s[6:7], -v[68:69]
	v_fma_f64 v[66:67], v[74:75], s[6:7], -v[70:71]
	;; [unrolled: 1-line block ×4, first 2 shown]
	v_fma_f64 v[48:49], v[48:49], s[14:15], v[32:33]
	v_fma_f64 v[50:51], v[50:51], s[14:15], v[34:35]
	v_fma_f64 v[52:53], v[28:29], s[20:21], -v[52:53]
	v_fma_f64 v[54:55], v[30:31], s[20:21], -v[54:55]
	;; [unrolled: 1-line block ×4, first 2 shown]
	v_fma_f64 v[62:63], v[36:37], s[26:27], v[44:45]
	v_fma_f64 v[60:61], v[38:39], s[26:27], v[46:47]
	v_fma_f64 v[64:65], v[36:37], s[26:27], v[64:65]
	v_fma_f64 v[66:67], v[38:39], s[26:27], v[66:67]
	v_fma_f64 v[68:69], v[36:37], s[26:27], v[68:69]
	v_fma_f64 v[70:71], v[38:39], s[26:27], v[70:71]
	v_add_f64 v[72:73], v[40:41], v[48:49]
	v_add_f64 v[74:75], v[42:43], v[50:51]
	;; [unrolled: 1-line block ×7, first 2 shown]
	v_add_f64 v[38:39], v[74:75], -v[62:63]
	v_add_f64 v[40:41], v[70:71], v[52:53]
	v_add_f64 v[42:43], v[54:55], -v[68:69]
	v_add_f64 v[44:45], v[28:29], -v[66:67]
	v_add_f64 v[46:47], v[64:65], v[30:31]
	v_add_f64 v[48:49], v[66:67], v[28:29]
	v_add_f64 v[50:51], v[30:31], -v[64:65]
	v_add_f64 v[52:53], v[52:53], -v[70:71]
	v_add_f64 v[54:55], v[68:69], v[54:55]
	v_add_f64 v[60:61], v[72:73], -v[60:61]
	v_add_f64 v[62:63], v[62:63], v[74:75]
	v_mov_b32_e32 v28, 0xee0
	v_lshlrev_b32_sdwa v30, v58, v102 dst_sel:DWORD dst_unused:UNUSED_PAD src0_sel:DWORD src1_sel:BYTE_0
	v_mul_u32_u24_sdwa v29, v87, v28 dst_sel:DWORD dst_unused:UNUSED_PAD src0_sel:WORD_0 src1_sel:DWORD
	v_add3_u32 v29, 0, v29, v30
	ds_write_b128 v29, v[32:35]
	ds_write_b128 v29, v[36:39] offset:544
	ds_write_b128 v29, v[40:43] offset:1088
	;; [unrolled: 1-line block ×6, first 2 shown]
	s_and_saveexec_b32 s1, s0
	s_cbranch_execz .LBB0_25
; %bb.24:
	v_lshrrev_b16 v65, 13, v57
	v_mul_lo_u16 v29, v65, 34
	v_mul_u32_u24_sdwa v28, v65, v28 dst_sel:DWORD dst_unused:UNUSED_PAD src0_sel:WORD_0 src1_sel:DWORD
	v_sub_nc_u16 v66, v56, v29
	v_mul_u32_u24_sdwa v29, v66, v59 dst_sel:DWORD dst_unused:UNUSED_PAD src0_sel:BYTE_0 src1_sel:DWORD
	v_lshlrev_b32_e32 v49, 4, v29
	s_clause 0x5
	global_load_dwordx4 v[29:32], v49, s[12:13] offset:288
	global_load_dwordx4 v[33:36], v49, s[12:13] offset:336
	;; [unrolled: 1-line block ×6, first 2 shown]
	s_waitcnt vmcnt(5)
	v_mul_f64 v[53:54], v[12:13], v[31:32]
	s_waitcnt vmcnt(4)
	v_mul_f64 v[55:56], v[0:1], v[35:36]
	;; [unrolled: 2-line block ×4, first 2 shown]
	v_mul_f64 v[31:32], v[14:15], v[31:32]
	v_mul_f64 v[35:36], v[2:3], v[35:36]
	;; [unrolled: 1-line block ×4, first 2 shown]
	s_waitcnt vmcnt(1)
	v_mul_f64 v[61:62], v[18:19], v[47:48]
	s_waitcnt vmcnt(0)
	v_mul_f64 v[63:64], v[26:27], v[51:52]
	v_mul_f64 v[51:52], v[24:25], v[51:52]
	;; [unrolled: 1-line block ×3, first 2 shown]
	v_fma_f64 v[14:15], v[14:15], v[29:30], v[53:54]
	v_fma_f64 v[2:3], v[2:3], v[33:34], v[55:56]
	v_fma_f64 v[22:23], v[22:23], v[37:38], v[57:58]
	v_fma_f64 v[6:7], v[6:7], v[41:42], v[59:60]
	v_fma_f64 v[12:13], v[12:13], v[29:30], -v[31:32]
	v_fma_f64 v[0:1], v[0:1], v[33:34], -v[35:36]
	;; [unrolled: 1-line block ×6, first 2 shown]
	v_fma_f64 v[26:27], v[26:27], v[49:50], v[51:52]
	v_fma_f64 v[18:19], v[18:19], v[45:46], v[47:48]
	v_add_f64 v[29:30], v[14:15], v[2:3]
	v_add_f64 v[2:3], v[14:15], -v[2:3]
	v_add_f64 v[31:32], v[22:23], v[6:7]
	v_add_f64 v[6:7], v[22:23], -v[6:7]
	;; [unrolled: 2-line block ×4, first 2 shown]
	v_add_f64 v[37:38], v[16:17], -v[24:25]
	v_add_f64 v[16:17], v[24:25], v[16:17]
	v_add_f64 v[12:13], v[26:27], v[18:19]
	v_add_f64 v[18:19], v[18:19], -v[26:27]
	v_add_f64 v[20:21], v[29:30], v[31:32]
	v_add_f64 v[43:44], v[2:3], -v[6:7]
	;; [unrolled: 2-line block ×3, first 2 shown]
	v_add_f64 v[22:23], v[37:38], -v[0:1]
	v_add_f64 v[26:27], v[35:36], -v[16:17]
	;; [unrolled: 1-line block ×4, first 2 shown]
	v_add_f64 v[45:46], v[37:38], v[0:1]
	v_add_f64 v[37:38], v[4:5], -v[37:38]
	v_add_f64 v[47:48], v[18:19], v[2:3]
	v_add_f64 v[18:19], v[6:7], -v[18:19]
	;; [unrolled: 2-line block ×4, first 2 shown]
	v_mul_f64 v[22:23], v[22:23], s[16:17]
	v_mul_f64 v[26:27], v[26:27], s[8:9]
	;; [unrolled: 1-line block ×4, first 2 shown]
	v_add_f64 v[4:5], v[45:46], v[4:5]
	v_add_f64 v[6:7], v[47:48], v[6:7]
	;; [unrolled: 1-line block ×3, first 2 shown]
	v_add_f64 v[10:11], v[29:30], -v[31:32]
	v_mul_f64 v[29:30], v[12:13], s[4:5]
	v_mul_f64 v[31:32], v[41:42], s[16:17]
	v_add_f64 v[0:1], v[8:9], v[14:15]
	v_mul_f64 v[41:42], v[43:44], s[6:7]
	v_add_f64 v[8:9], v[33:34], -v[35:36]
	v_mul_f64 v[33:34], v[16:17], s[4:5]
	v_fma_f64 v[35:36], v[37:38], s[22:23], v[22:23]
	v_fma_f64 v[12:13], v[12:13], s[4:5], v[24:25]
	;; [unrolled: 1-line block ×3, first 2 shown]
	v_fma_f64 v[37:38], v[37:38], s[24:25], -v[49:50]
	v_fma_f64 v[22:23], v[39:40], s[6:7], -v[22:23]
	v_fma_f64 v[20:21], v[20:21], s[14:15], v[2:3]
	v_fma_f64 v[24:25], v[10:11], s[20:21], -v[24:25]
	v_fma_f64 v[10:11], v[10:11], s[18:19], -v[29:30]
	v_fma_f64 v[29:30], v[18:19], s[22:23], v[31:32]
	v_fma_f64 v[14:15], v[14:15], s[14:15], v[0:1]
	v_fma_f64 v[18:19], v[18:19], s[24:25], -v[41:42]
	v_fma_f64 v[26:27], v[8:9], s[20:21], -v[26:27]
	;; [unrolled: 1-line block ×4, first 2 shown]
	v_fma_f64 v[33:34], v[4:5], s[26:27], v[35:36]
	v_fma_f64 v[35:36], v[4:5], s[26:27], v[37:38]
	;; [unrolled: 1-line block ×3, first 2 shown]
	v_add_f64 v[12:13], v[12:13], v[20:21]
	v_add_f64 v[22:23], v[24:25], v[20:21]
	;; [unrolled: 1-line block ×3, first 2 shown]
	v_fma_f64 v[29:30], v[6:7], s[26:27], v[29:30]
	v_add_f64 v[39:40], v[16:17], v[14:15]
	v_fma_f64 v[37:38], v[6:7], s[26:27], v[18:19]
	v_add_f64 v[41:42], v[26:27], v[14:15]
	;; [unrolled: 2-line block ×3, first 2 shown]
	v_add_f64 v[26:27], v[12:13], -v[33:34]
	v_add_f64 v[10:11], v[35:36], v[22:23]
	v_add_f64 v[14:15], v[20:21], -v[4:5]
	v_add_f64 v[18:19], v[4:5], v[20:21]
	v_add_f64 v[24:25], v[29:30], v[39:40]
	v_add_f64 v[22:23], v[22:23], -v[35:36]
	v_add_f64 v[20:21], v[37:38], v[41:42]
	;; [unrolled: 3-line block ×3, first 2 shown]
	v_add_f64 v[8:9], v[41:42], -v[37:38]
	v_add_f64 v[4:5], v[39:40], -v[29:30]
	v_mov_b32_e32 v29, 4
	v_lshlrev_b32_sdwa v29, v29, v66 dst_sel:DWORD dst_unused:UNUSED_PAD src0_sel:DWORD src1_sel:BYTE_0
	v_add3_u32 v28, 0, v28, v29
	ds_write_b128 v28, v[0:3]
	ds_write_b128 v28, v[24:27] offset:544
	ds_write_b128 v28, v[20:23] offset:1088
	;; [unrolled: 1-line block ×6, first 2 shown]
.LBB0_25:
	s_or_b32 exec_lo, exec_lo, s1
	v_mul_u32_u24_e32 v0, 5, v86
	s_waitcnt lgkmcnt(0)
	s_barrier
	buffer_gl0_inv
	s_mov_b32 s5, 0xbfebb67a
	v_lshlrev_b32_e32 v0, 4, v0
	v_add_co_u32 v8, s0, s12, v0
	v_add_co_ci_u32_e64 v9, null, s13, 0, s0
	v_add_co_u32 v28, s0, 0xdd0, v8
	v_add_co_ci_u32_e64 v29, s0, 0, v9, s0
	v_add_co_u32 v16, s0, 0x800, v8
	v_add_co_ci_u32_e64 v17, s0, 0, v9, s0
	global_load_dwordx4 v[0:3], v[28:29], off offset:32
	v_add_co_u32 v36, s0, 0x3300, v8
	global_load_dwordx4 v[4:7], v[16:17], off offset:1552
	v_add_co_ci_u32_e64 v37, s0, 0, v9, s0
	v_add_co_u32 v20, s0, 0x3000, v8
	v_add_co_ci_u32_e64 v21, s0, 0, v9, s0
	s_clause 0x7
	global_load_dwordx4 v[8:11], v[36:37], off offset:32
	global_load_dwordx4 v[12:15], v[20:21], off offset:832
	;; [unrolled: 1-line block ×8, first 2 shown]
	ds_read_b128 v[40:43], v218 offset:11424
	ds_read_b128 v[44:47], v218 offset:19040
	;; [unrolled: 1-line block ×8, first 2 shown]
	s_mov_b32 s0, 0xe8584caa
	s_mov_b32 s1, 0x3febb67a
	;; [unrolled: 1-line block ×3, first 2 shown]
	s_waitcnt vmcnt(9) lgkmcnt(7)
	v_mul_f64 v[72:73], v[42:43], v[2:3]
	v_mul_f64 v[2:3], v[40:41], v[2:3]
	s_waitcnt vmcnt(8) lgkmcnt(6)
	v_mul_f64 v[74:75], v[44:45], v[6:7]
	v_mul_f64 v[6:7], v[46:47], v[6:7]
	;; [unrolled: 3-line block ×5, first 2 shown]
	v_fma_f64 v[40:41], v[40:41], v[0:1], -v[72:73]
	v_fma_f64 v[42:43], v[42:43], v[0:1], v[2:3]
	s_waitcnt vmcnt(4) lgkmcnt(2)
	v_mul_f64 v[72:73], v[62:63], v[22:23]
	v_fma_f64 v[46:47], v[46:47], v[4:5], v[74:75]
	v_fma_f64 v[44:45], v[44:45], v[4:5], -v[6:7]
	v_mul_f64 v[22:23], v[60:61], v[22:23]
	v_fma_f64 v[48:49], v[48:49], v[8:9], -v[76:77]
	v_fma_f64 v[50:51], v[50:51], v[8:9], v[10:11]
	v_fma_f64 v[54:55], v[54:55], v[12:13], v[78:79]
	v_fma_f64 v[12:13], v[52:53], v[12:13], -v[14:15]
	ds_read_b128 v[0:3], v218 offset:9520
	ds_read_b128 v[4:7], v218 offset:17136
	s_waitcnt vmcnt(3) lgkmcnt(2)
	v_mul_f64 v[8:9], v[70:71], v[26:27]
	v_mul_f64 v[10:11], v[68:69], v[26:27]
	s_waitcnt vmcnt(2)
	v_mul_f64 v[14:15], v[66:67], v[30:31]
	v_mul_f64 v[26:27], v[64:65], v[30:31]
	v_fma_f64 v[30:31], v[56:57], v[16:17], -v[80:81]
	v_fma_f64 v[16:17], v[58:59], v[16:17], v[18:19]
	v_fma_f64 v[60:61], v[60:61], v[20:21], -v[72:73]
	v_add_f64 v[18:19], v[42:43], v[46:47]
	v_add_f64 v[52:53], v[40:41], v[44:45]
	v_fma_f64 v[20:21], v[62:63], v[20:21], v[22:23]
	s_waitcnt vmcnt(1) lgkmcnt(1)
	v_mul_f64 v[56:57], v[2:3], v[34:35]
	v_mul_f64 v[34:35], v[0:1], v[34:35]
	s_waitcnt vmcnt(0) lgkmcnt(0)
	v_mul_f64 v[58:59], v[6:7], v[38:39]
	v_mul_f64 v[38:39], v[4:5], v[38:39]
	v_add_f64 v[22:23], v[50:51], v[54:55]
	v_add_f64 v[62:63], v[48:49], v[12:13]
	v_fma_f64 v[68:69], v[68:69], v[24:25], -v[8:9]
	v_fma_f64 v[24:25], v[70:71], v[24:25], v[10:11]
	v_fma_f64 v[14:15], v[64:65], v[28:29], -v[14:15]
	v_fma_f64 v[26:27], v[66:67], v[28:29], v[26:27]
	v_add_f64 v[28:29], v[42:43], -v[46:47]
	v_add_f64 v[64:65], v[40:41], -v[44:45]
	ds_read_b128 v[8:11], v218
	v_fma_f64 v[18:19], v[18:19], -0.5, v[16:17]
	v_fma_f64 v[52:53], v[52:53], -0.5, v[30:31]
	v_add_f64 v[30:31], v[30:31], v[40:41]
	v_add_f64 v[16:17], v[16:17], v[42:43]
	v_fma_f64 v[56:57], v[0:1], v[32:33], -v[56:57]
	v_fma_f64 v[32:33], v[2:3], v[32:33], v[34:35]
	ds_read_b128 v[0:3], v218 offset:1904
	v_fma_f64 v[4:5], v[4:5], v[36:37], -v[58:59]
	v_fma_f64 v[6:7], v[6:7], v[36:37], v[38:39]
	v_add_f64 v[34:35], v[50:51], -v[54:55]
	v_add_f64 v[36:37], v[48:49], -v[12:13]
	v_fma_f64 v[22:23], v[22:23], -0.5, v[20:21]
	v_fma_f64 v[38:39], v[62:63], -0.5, v[60:61]
	v_add_f64 v[58:59], v[68:69], v[14:15]
	v_add_f64 v[66:67], v[24:25], v[26:27]
	v_add_f64 v[70:71], v[24:25], -v[26:27]
	s_waitcnt lgkmcnt(1)
	v_add_f64 v[24:25], v[10:11], v[24:25]
	v_add_f64 v[62:63], v[8:9], v[68:69]
	;; [unrolled: 1-line block ×4, first 2 shown]
	v_add_f64 v[68:69], v[68:69], -v[14:15]
	s_waitcnt lgkmcnt(0)
	v_fma_f64 v[72:73], v[64:65], s[4:5], v[18:19]
	v_fma_f64 v[74:75], v[28:29], s[4:5], v[52:53]
	;; [unrolled: 1-line block ×4, first 2 shown]
	v_add_f64 v[30:31], v[30:31], v[44:45]
	v_add_f64 v[16:17], v[16:17], v[46:47]
	s_barrier
	v_add_f64 v[52:53], v[56:57], v[4:5]
	v_add_f64 v[64:65], v[32:33], v[6:7]
	v_add_f64 v[42:43], v[56:57], -v[4:5]
	buffer_gl0_inv
	v_fma_f64 v[76:77], v[36:37], s[4:5], v[22:23]
	v_fma_f64 v[78:79], v[34:35], s[4:5], v[38:39]
	;; [unrolled: 1-line block ×4, first 2 shown]
	v_add_f64 v[36:37], v[0:1], v[56:57]
	v_add_f64 v[38:39], v[2:3], v[32:33]
	v_fma_f64 v[8:9], v[58:59], -0.5, v[8:9]
	v_fma_f64 v[10:11], v[66:67], -0.5, v[10:11]
	v_add_f64 v[32:33], v[32:33], -v[6:7]
	v_add_f64 v[24:25], v[24:25], v[26:27]
	v_add_f64 v[14:15], v[62:63], v[14:15]
	v_mul_f64 v[48:49], v[72:73], s[0:1]
	v_mul_f64 v[50:51], v[74:75], -0.5
	v_mul_f64 v[56:57], v[28:29], s[4:5]
	v_mul_f64 v[58:59], v[18:19], -0.5
	v_add_f64 v[12:13], v[40:41], v[12:13]
	v_add_f64 v[20:21], v[20:21], v[54:55]
	v_fma_f64 v[0:1], v[52:53], -0.5, v[0:1]
	v_fma_f64 v[2:3], v[64:65], -0.5, v[2:3]
	v_mul_f64 v[26:27], v[76:77], s[0:1]
	v_mul_f64 v[52:53], v[78:79], -0.5
	v_mul_f64 v[60:61], v[34:35], s[4:5]
	v_mul_f64 v[62:63], v[22:23], -0.5
	v_add_f64 v[36:37], v[36:37], v[4:5]
	v_add_f64 v[38:39], v[38:39], v[6:7]
	v_fma_f64 v[40:41], v[70:71], s[0:1], v[8:9]
	v_fma_f64 v[46:47], v[68:69], s[4:5], v[10:11]
	;; [unrolled: 1-line block ×4, first 2 shown]
	v_add_f64 v[4:5], v[14:15], -v[30:31]
	v_fma_f64 v[28:29], v[28:29], 0.5, v[48:49]
	v_fma_f64 v[48:49], v[18:19], s[0:1], v[50:51]
	v_fma_f64 v[50:51], v[72:73], 0.5, v[56:57]
	v_fma_f64 v[56:57], v[74:75], s[4:5], v[58:59]
	v_add_f64 v[6:7], v[24:25], -v[16:17]
	v_fma_f64 v[58:59], v[32:33], s[0:1], v[0:1]
	v_fma_f64 v[66:67], v[42:43], s[4:5], v[2:3]
	;; [unrolled: 1-line block ×4, first 2 shown]
	v_fma_f64 v[42:43], v[34:35], 0.5, v[26:27]
	v_fma_f64 v[52:53], v[22:23], s[0:1], v[52:53]
	v_fma_f64 v[60:61], v[76:77], 0.5, v[60:61]
	v_fma_f64 v[62:63], v[78:79], s[4:5], v[62:63]
	v_add_f64 v[0:1], v[14:15], v[30:31]
	v_add_f64 v[2:3], v[24:25], v[16:17]
	;; [unrolled: 1-line block ×4, first 2 shown]
	v_add_f64 v[12:13], v[36:37], -v[12:13]
	v_add_f64 v[14:15], v[38:39], -v[20:21]
	v_add_f64 v[16:17], v[40:41], v[28:29]
	v_add_f64 v[20:21], v[44:45], v[48:49]
	;; [unrolled: 1-line block ×4, first 2 shown]
	v_add_f64 v[24:25], v[40:41], -v[28:29]
	v_add_f64 v[26:27], v[46:47], -v[50:51]
	;; [unrolled: 1-line block ×4, first 2 shown]
	v_add_f64 v[32:33], v[58:59], v[42:43]
	v_add_f64 v[36:37], v[64:65], v[52:53]
	;; [unrolled: 1-line block ×4, first 2 shown]
	v_add_f64 v[40:41], v[58:59], -v[42:43]
	v_add_f64 v[42:43], v[66:67], -v[60:61]
	;; [unrolled: 1-line block ×4, first 2 shown]
	ds_write_b128 v218, v[0:3]
	ds_write_b128 v218, v[4:7] offset:11424
	ds_write_b128 v218, v[8:11] offset:1904
	;; [unrolled: 1-line block ×11, first 2 shown]
	s_waitcnt lgkmcnt(0)
	s_barrier
	buffer_gl0_inv
	s_and_saveexec_b32 s0, vcc_lo
	s_cbranch_execz .LBB0_27
; %bb.26:
	v_mul_lo_u32 v2, s3, v88
	v_mul_lo_u32 v3, s2, v89
	v_mad_u64_u32 v[0:1], null, s2, v88, 0
	v_lshl_add_u32 v30, v86, 4, 0
	v_mov_b32_e32 v87, 0
	v_lshlrev_b64 v[8:9], 4, v[84:85]
	v_add_nc_u32_e32 v10, 0x77, v86
	v_add_nc_u32_e32 v13, 0xee, v86
	;; [unrolled: 1-line block ×3, first 2 shown]
	v_add3_u32 v1, v1, v3, v2
	v_lshlrev_b64 v[14:15], 4, v[86:87]
	v_mov_b32_e32 v17, v87
	v_mov_b32_e32 v29, v87
	v_lshlrev_b64 v[11:12], 4, v[0:1]
	ds_read_b128 v[0:3], v30
	ds_read_b128 v[4:7], v30 offset:1904
	v_add_co_u32 v16, vcc_lo, s10, v11
	v_add_co_ci_u32_e32 v12, vcc_lo, s11, v12, vcc_lo
	v_mov_b32_e32 v11, v87
	v_add_co_u32 v31, vcc_lo, v16, v8
	v_add_co_ci_u32_e32 v32, vcc_lo, v12, v9, vcc_lo
	v_lshlrev_b64 v[8:9], 4, v[10:11]
	v_add_co_u32 v10, vcc_lo, v31, v14
	v_add_co_ci_u32_e32 v11, vcc_lo, v32, v15, vcc_lo
	v_mov_b32_e32 v14, v87
	v_add_co_u32 v8, vcc_lo, v31, v8
	v_add_co_ci_u32_e32 v9, vcc_lo, v32, v9, vcc_lo
	v_add_nc_u32_e32 v15, 0x165, v86
	v_mov_b32_e32 v16, v87
	s_waitcnt lgkmcnt(1)
	global_store_dwordx4 v[10:11], v[0:3], off
	s_waitcnt lgkmcnt(0)
	global_store_dwordx4 v[8:9], v[4:7], off
	v_lshlrev_b64 v[12:13], 4, v[13:14]
	ds_read_b128 v[0:3], v30 offset:3808
	ds_read_b128 v[4:7], v30 offset:5712
	;; [unrolled: 1-line block ×3, first 2 shown]
	v_lshlrev_b64 v[14:15], 4, v[15:16]
	v_add_nc_u32_e32 v16, 0x1dc, v86
	v_add_co_u32 v20, vcc_lo, v31, v12
	v_add_co_ci_u32_e32 v21, vcc_lo, v32, v13, vcc_lo
	v_lshlrev_b64 v[12:13], 4, v[16:17]
	v_add_nc_u32_e32 v16, 0x253, v86
	v_add_co_u32 v22, vcc_lo, v31, v14
	v_add_co_ci_u32_e32 v23, vcc_lo, v32, v15, vcc_lo
	v_lshlrev_b64 v[26:27], 4, v[16:17]
	ds_read_b128 v[16:19], v30 offset:11424
	v_add_co_u32 v24, vcc_lo, v31, v12
	v_add_co_ci_u32_e32 v25, vcc_lo, v32, v13, vcc_lo
	ds_read_b128 v[12:15], v30 offset:9520
	s_waitcnt lgkmcnt(4)
	global_store_dwordx4 v[20:21], v[0:3], off
	s_waitcnt lgkmcnt(3)
	global_store_dwordx4 v[22:23], v[4:7], off
	;; [unrolled: 2-line block ×3, first 2 shown]
	v_lshlrev_b64 v[0:1], 4, v[28:29]
	v_add_co_u32 v2, vcc_lo, v31, v26
	v_add_co_ci_u32_e32 v3, vcc_lo, v32, v27, vcc_lo
	v_add_nc_u32_e32 v4, 0x341, v86
	v_mov_b32_e32 v5, v87
	v_add_co_u32 v6, vcc_lo, v31, v0
	v_add_co_ci_u32_e32 v7, vcc_lo, v32, v1, vcc_lo
	v_add_nc_u32_e32 v8, 0x3b8, v86
	v_mov_b32_e32 v9, v87
	v_lshlrev_b64 v[4:5], 4, v[4:5]
	s_waitcnt lgkmcnt(1)
	global_store_dwordx4 v[6:7], v[16:19], off
	v_add_nc_u32_e32 v24, 0x4a6, v86
	v_mov_b32_e32 v25, v87
	v_lshlrev_b64 v[6:7], 4, v[8:9]
	s_waitcnt lgkmcnt(0)
	global_store_dwordx4 v[2:3], v[12:15], off
	v_add_co_u32 v20, vcc_lo, v31, v4
	v_add_nc_u32_e32 v12, 0x42f, v86
	v_mov_b32_e32 v13, v87
	v_add_co_ci_u32_e32 v21, vcc_lo, v32, v5, vcc_lo
	v_add_co_u32 v22, vcc_lo, v31, v6
	ds_read_b128 v[0:3], v30 offset:13328
	v_add_co_ci_u32_e32 v23, vcc_lo, v32, v7, vcc_lo
	ds_read_b128 v[4:7], v30 offset:15232
	ds_read_b128 v[8:11], v30 offset:17136
	v_lshlrev_b64 v[26:27], 4, v[12:13]
	ds_read_b128 v[12:15], v30 offset:19040
	ds_read_b128 v[16:19], v30 offset:20944
	v_add_nc_u32_e32 v86, 0x51d, v86
	v_lshlrev_b64 v[24:25], 4, v[24:25]
	v_add_co_u32 v26, vcc_lo, v31, v26
	v_lshlrev_b64 v[28:29], 4, v[86:87]
	v_add_co_ci_u32_e32 v27, vcc_lo, v32, v27, vcc_lo
	v_add_co_u32 v24, vcc_lo, v31, v24
	v_add_co_ci_u32_e32 v25, vcc_lo, v32, v25, vcc_lo
	v_add_co_u32 v28, vcc_lo, v31, v28
	v_add_co_ci_u32_e32 v29, vcc_lo, v32, v29, vcc_lo
	s_waitcnt lgkmcnt(4)
	global_store_dwordx4 v[20:21], v[0:3], off
	s_waitcnt lgkmcnt(3)
	global_store_dwordx4 v[22:23], v[4:7], off
	s_waitcnt lgkmcnt(2)
	global_store_dwordx4 v[26:27], v[8:11], off
	s_waitcnt lgkmcnt(1)
	global_store_dwordx4 v[24:25], v[12:15], off
	s_waitcnt lgkmcnt(0)
	global_store_dwordx4 v[28:29], v[16:19], off
.LBB0_27:
	s_endpgm
	.section	.rodata,"a",@progbits
	.p2align	6, 0x0
	.amdhsa_kernel fft_rtc_fwd_len1428_factors_17_2_7_6_wgs_119_tpt_119_halfLds_dp_op_CI_CI_unitstride_sbrr_C2R_dirReg
		.amdhsa_group_segment_fixed_size 0
		.amdhsa_private_segment_fixed_size 20
		.amdhsa_kernarg_size 104
		.amdhsa_user_sgpr_count 6
		.amdhsa_user_sgpr_private_segment_buffer 1
		.amdhsa_user_sgpr_dispatch_ptr 0
		.amdhsa_user_sgpr_queue_ptr 0
		.amdhsa_user_sgpr_kernarg_segment_ptr 1
		.amdhsa_user_sgpr_dispatch_id 0
		.amdhsa_user_sgpr_flat_scratch_init 0
		.amdhsa_user_sgpr_private_segment_size 0
		.amdhsa_wavefront_size32 1
		.amdhsa_uses_dynamic_stack 0
		.amdhsa_system_sgpr_private_segment_wavefront_offset 1
		.amdhsa_system_sgpr_workgroup_id_x 1
		.amdhsa_system_sgpr_workgroup_id_y 0
		.amdhsa_system_sgpr_workgroup_id_z 0
		.amdhsa_system_sgpr_workgroup_info 0
		.amdhsa_system_vgpr_workitem_id 0
		.amdhsa_next_free_vgpr 255
		.amdhsa_next_free_sgpr 60
		.amdhsa_reserve_vcc 1
		.amdhsa_reserve_flat_scratch 0
		.amdhsa_float_round_mode_32 0
		.amdhsa_float_round_mode_16_64 0
		.amdhsa_float_denorm_mode_32 3
		.amdhsa_float_denorm_mode_16_64 3
		.amdhsa_dx10_clamp 1
		.amdhsa_ieee_mode 1
		.amdhsa_fp16_overflow 0
		.amdhsa_workgroup_processor_mode 1
		.amdhsa_memory_ordered 1
		.amdhsa_forward_progress 0
		.amdhsa_shared_vgpr_count 0
		.amdhsa_exception_fp_ieee_invalid_op 0
		.amdhsa_exception_fp_denorm_src 0
		.amdhsa_exception_fp_ieee_div_zero 0
		.amdhsa_exception_fp_ieee_overflow 0
		.amdhsa_exception_fp_ieee_underflow 0
		.amdhsa_exception_fp_ieee_inexact 0
		.amdhsa_exception_int_div_zero 0
	.end_amdhsa_kernel
	.text
.Lfunc_end0:
	.size	fft_rtc_fwd_len1428_factors_17_2_7_6_wgs_119_tpt_119_halfLds_dp_op_CI_CI_unitstride_sbrr_C2R_dirReg, .Lfunc_end0-fft_rtc_fwd_len1428_factors_17_2_7_6_wgs_119_tpt_119_halfLds_dp_op_CI_CI_unitstride_sbrr_C2R_dirReg
                                        ; -- End function
	.section	.AMDGPU.csdata,"",@progbits
; Kernel info:
; codeLenInByte = 15480
; NumSgprs: 62
; NumVgprs: 255
; ScratchSize: 20
; MemoryBound: 0
; FloatMode: 240
; IeeeMode: 1
; LDSByteSize: 0 bytes/workgroup (compile time only)
; SGPRBlocks: 7
; VGPRBlocks: 31
; NumSGPRsForWavesPerEU: 62
; NumVGPRsForWavesPerEU: 255
; Occupancy: 4
; WaveLimiterHint : 1
; COMPUTE_PGM_RSRC2:SCRATCH_EN: 1
; COMPUTE_PGM_RSRC2:USER_SGPR: 6
; COMPUTE_PGM_RSRC2:TRAP_HANDLER: 0
; COMPUTE_PGM_RSRC2:TGID_X_EN: 1
; COMPUTE_PGM_RSRC2:TGID_Y_EN: 0
; COMPUTE_PGM_RSRC2:TGID_Z_EN: 0
; COMPUTE_PGM_RSRC2:TIDIG_COMP_CNT: 0
	.text
	.p2alignl 6, 3214868480
	.fill 48, 4, 3214868480
	.type	__hip_cuid_c48bd2a72b128c4f,@object ; @__hip_cuid_c48bd2a72b128c4f
	.section	.bss,"aw",@nobits
	.globl	__hip_cuid_c48bd2a72b128c4f
__hip_cuid_c48bd2a72b128c4f:
	.byte	0                               ; 0x0
	.size	__hip_cuid_c48bd2a72b128c4f, 1

	.ident	"AMD clang version 19.0.0git (https://github.com/RadeonOpenCompute/llvm-project roc-6.4.0 25133 c7fe45cf4b819c5991fe208aaa96edf142730f1d)"
	.section	".note.GNU-stack","",@progbits
	.addrsig
	.addrsig_sym __hip_cuid_c48bd2a72b128c4f
	.amdgpu_metadata
---
amdhsa.kernels:
  - .args:
      - .actual_access:  read_only
        .address_space:  global
        .offset:         0
        .size:           8
        .value_kind:     global_buffer
      - .offset:         8
        .size:           8
        .value_kind:     by_value
      - .actual_access:  read_only
        .address_space:  global
        .offset:         16
        .size:           8
        .value_kind:     global_buffer
      - .actual_access:  read_only
        .address_space:  global
        .offset:         24
        .size:           8
        .value_kind:     global_buffer
      - .actual_access:  read_only
        .address_space:  global
        .offset:         32
        .size:           8
        .value_kind:     global_buffer
      - .offset:         40
        .size:           8
        .value_kind:     by_value
      - .actual_access:  read_only
        .address_space:  global
        .offset:         48
        .size:           8
        .value_kind:     global_buffer
      - .actual_access:  read_only
        .address_space:  global
        .offset:         56
        .size:           8
        .value_kind:     global_buffer
      - .offset:         64
        .size:           4
        .value_kind:     by_value
      - .actual_access:  read_only
        .address_space:  global
        .offset:         72
        .size:           8
        .value_kind:     global_buffer
      - .actual_access:  read_only
        .address_space:  global
        .offset:         80
        .size:           8
        .value_kind:     global_buffer
      - .actual_access:  read_only
        .address_space:  global
        .offset:         88
        .size:           8
        .value_kind:     global_buffer
      - .actual_access:  write_only
        .address_space:  global
        .offset:         96
        .size:           8
        .value_kind:     global_buffer
    .group_segment_fixed_size: 0
    .kernarg_segment_align: 8
    .kernarg_segment_size: 104
    .language:       OpenCL C
    .language_version:
      - 2
      - 0
    .max_flat_workgroup_size: 119
    .name:           fft_rtc_fwd_len1428_factors_17_2_7_6_wgs_119_tpt_119_halfLds_dp_op_CI_CI_unitstride_sbrr_C2R_dirReg
    .private_segment_fixed_size: 20
    .sgpr_count:     62
    .sgpr_spill_count: 0
    .symbol:         fft_rtc_fwd_len1428_factors_17_2_7_6_wgs_119_tpt_119_halfLds_dp_op_CI_CI_unitstride_sbrr_C2R_dirReg.kd
    .uniform_work_group_size: 1
    .uses_dynamic_stack: false
    .vgpr_count:     255
    .vgpr_spill_count: 4
    .wavefront_size: 32
    .workgroup_processor_mode: 1
amdhsa.target:   amdgcn-amd-amdhsa--gfx1030
amdhsa.version:
  - 1
  - 2
...

	.end_amdgpu_metadata
